;; amdgpu-corpus repo=ROCm/rocFFT kind=compiled arch=gfx1201 opt=O3
	.text
	.amdgcn_target "amdgcn-amd-amdhsa--gfx1201"
	.amdhsa_code_object_version 6
	.protected	bluestein_single_fwd_len1296_dim1_half_op_CI_CI ; -- Begin function bluestein_single_fwd_len1296_dim1_half_op_CI_CI
	.globl	bluestein_single_fwd_len1296_dim1_half_op_CI_CI
	.p2align	8
	.type	bluestein_single_fwd_len1296_dim1_half_op_CI_CI,@function
bluestein_single_fwd_len1296_dim1_half_op_CI_CI: ; @bluestein_single_fwd_len1296_dim1_half_op_CI_CI
; %bb.0:
	s_load_b128 s[16:19], s[0:1], 0x28
	v_mul_u32_u24_e32 v1, 0x25f, v0
	s_mov_b32 s2, exec_lo
	v_mov_b32_e32 v25, 0
	s_delay_alu instid0(VALU_DEP_2) | instskip(NEXT) | instid1(VALU_DEP_1)
	v_lshrrev_b32_e32 v1, 16, v1
	v_add_nc_u32_e32 v24, ttmp9, v1
	s_wait_kmcnt 0x0
	s_delay_alu instid0(VALU_DEP_1)
	v_cmpx_gt_u64_e64 s[16:17], v[24:25]
	s_cbranch_execz .LBB0_2
; %bb.1:
	s_clause 0x1
	s_load_b128 s[4:7], s[0:1], 0x18
	s_load_b128 s[8:11], s[0:1], 0x0
	v_mul_lo_u16 v1, 0x6c, v1
	s_load_b64 s[0:1], s[0:1], 0x38
	s_mov_b32 s38, 0xfcd6e9e0
	s_mov_b32 s39, 0x3f4948b0
	s_delay_alu instid0(VALU_DEP_1) | instskip(NEXT) | instid1(VALU_DEP_1)
	v_sub_nc_u16 v0, v0, v1
	v_and_b32_e32 v71, 0xffff, v0
	v_and_b32_e32 v22, 0xff, v0
	v_mul_lo_u16 v15, v0, 6
	s_wait_kmcnt 0x0
	s_load_b128 s[12:15], s[4:5], 0x0
	s_wait_kmcnt 0x0
	v_mad_co_u64_u32 v[1:2], null, s14, v24, 0
	v_mad_co_u64_u32 v[3:4], null, s12, v71, 0
	s_mul_u64 s[2:3], s[12:13], 0x360
	s_mul_i32 s4, s13, 0xfffff0d0
	s_delay_alu instid0(SALU_CYCLE_1) | instskip(NEXT) | instid1(VALU_DEP_1)
	s_sub_co_i32 s4, s4, s12
	v_mad_co_u64_u32 v[5:6], null, s15, v24, v[2:3]
	s_delay_alu instid0(VALU_DEP_1) | instskip(NEXT) | instid1(VALU_DEP_3)
	v_mov_b32_e32 v2, v5
	v_mad_co_u64_u32 v[6:7], null, s13, v71, v[4:5]
	v_lshlrev_b32_e32 v54, 2, v71
	s_clause 0x1
	global_load_b32 v48, v54, s[8:9]
	global_load_b32 v45, v54, s[8:9] offset:3456
	v_mov_b32_e32 v4, v6
	v_lshlrev_b64_e32 v[1:2], 2, v[1:2]
	s_clause 0x9
	global_load_b32 v44, v54, s[8:9] offset:3024
	global_load_b32 v50, v54, s[8:9] offset:2592
	;; [unrolled: 1-line block ×10, first 2 shown]
	v_lshlrev_b64_e32 v[3:4], 2, v[3:4]
	v_add_nc_u32_e32 v66, 0xc00, v54
	v_add_co_u32 v1, vcc_lo, s18, v1
	v_add_co_ci_u32_e32 v2, vcc_lo, s19, v2, vcc_lo
	v_add_nc_u32_e32 v67, 0x1000, v54
	s_delay_alu instid0(VALU_DEP_3) | instskip(SKIP_1) | instid1(VALU_DEP_3)
	v_add_co_u32 v1, vcc_lo, v1, v3
	s_wait_alu 0xfffd
	v_add_co_ci_u32_e32 v2, vcc_lo, v2, v4, vcc_lo
	v_add_nc_u32_e32 v69, 0x200, v54
	s_delay_alu instid0(VALU_DEP_3) | instskip(SKIP_1) | instid1(VALU_DEP_3)
	v_add_co_u32 v3, vcc_lo, v1, s2
	s_wait_alu 0xfffd
	v_add_co_ci_u32_e32 v4, vcc_lo, s3, v2, vcc_lo
	global_load_b32 v7, v[1:2], off
	v_add_nc_u32_e32 v68, 0x600, v54
	v_add_nc_u32_e32 v70, 0x800, v54
	global_load_b32 v8, v[3:4], off
	v_add_co_u32 v1, vcc_lo, v3, s2
	s_wait_alu 0xfffd
	v_add_co_ci_u32_e32 v2, vcc_lo, s3, v4, vcc_lo
	s_delay_alu instid0(VALU_DEP_2) | instskip(SKIP_1) | instid1(VALU_DEP_2)
	v_add_co_u32 v5, vcc_lo, v1, s2
	s_wait_alu 0xfffd
	v_add_co_ci_u32_e32 v6, vcc_lo, s3, v2, vcc_lo
	global_load_b32 v9, v[1:2], off
	v_add_co_u32 v3, vcc_lo, v5, s2
	s_wait_alu 0xfffd
	v_add_co_ci_u32_e32 v4, vcc_lo, s3, v6, vcc_lo
	s_clause 0x1
	global_load_b32 v10, v[5:6], off
	global_load_b32 v11, v[3:4], off
	v_add_co_u32 v1, vcc_lo, v3, s2
	s_wait_alu 0xfffd
	v_add_co_ci_u32_e32 v2, vcc_lo, s3, v4, vcc_lo
	s_delay_alu instid0(VALU_DEP_1) | instskip(SKIP_4) | instid1(VALU_DEP_2)
	v_mad_co_u64_u32 v[5:6], null, 0xfffff0d0, s12, v[1:2]
	global_load_b32 v12, v[1:2], off
	v_add_nc_u32_e32 v6, s4, v6
	v_add_co_u32 v1, vcc_lo, v5, s2
	s_wait_alu 0xfffd
	v_add_co_ci_u32_e32 v2, vcc_lo, s3, v6, vcc_lo
	global_load_b32 v13, v[5:6], off
	global_load_b32 v5, v[1:2], off
	v_add_co_u32 v1, vcc_lo, v1, s2
	s_wait_alu 0xfffd
	v_add_co_ci_u32_e32 v2, vcc_lo, s3, v2, vcc_lo
	s_delay_alu instid0(VALU_DEP_2) | instskip(SKIP_1) | instid1(VALU_DEP_2)
	v_add_co_u32 v3, vcc_lo, v1, s2
	s_wait_alu 0xfffd
	v_add_co_ci_u32_e32 v4, vcc_lo, s3, v2, vcc_lo
	global_load_b32 v6, v[1:2], off
	v_add_co_u32 v1, vcc_lo, v3, s2
	s_wait_alu 0xfffd
	v_add_co_ci_u32_e32 v2, vcc_lo, s3, v4, vcc_lo
	global_load_b32 v14, v[3:4], off
	;; [unrolled: 4-line block ×3, first 2 shown]
	global_load_b32 v3, v[3:4], off
	v_mul_lo_u16 v4, 0xab, v22
	s_load_b128 s[4:7], s[6:7], 0x0
	v_add_co_u32 v1, null, 0x6c, v71
	s_add_nc_u64 s[2:3], s[8:9], 0x1440
	s_delay_alu instid0(VALU_DEP_2) | instskip(NEXT) | instid1(VALU_DEP_2)
	v_lshrrev_b16 v25, 10, v4
	v_and_b32_e32 v23, 0xff, v1
	s_delay_alu instid0(VALU_DEP_1) | instskip(NEXT) | instid1(VALU_DEP_1)
	v_mul_lo_u16 v16, 0xab, v23
	v_lshrrev_b16 v26, 10, v16
	s_delay_alu instid0(VALU_DEP_4) | instskip(SKIP_2) | instid1(VALU_DEP_2)
	v_mul_lo_u16 v16, v25, 6
	s_wait_kmcnt 0x0
	s_mul_u64 s[36:37], s[4:5], 0x360
	v_mul_lo_u16 v17, v26, 6
	s_wait_loadcnt 0x15
	v_lshrrev_b32_e32 v56, 16, v44
	s_wait_loadcnt 0x14
	v_lshrrev_b32_e32 v62, 16, v50
	v_lshrrev_b32_e32 v65, 16, v48
	s_wait_loadcnt 0x12
	v_lshrrev_b32_e32 v63, 16, v51
	;; [unrolled: 3-line block ×3, first 2 shown]
	s_wait_loadcnt 0xe
	v_lshrrev_b32_e32 v60, 16, v52
	v_lshrrev_b32_e32 v59, 16, v49
	;; [unrolled: 1-line block ×4, first 2 shown]
	s_wait_loadcnt 0xc
	v_lshrrev_b32_e32 v55, 16, v43
	v_lshrrev_b32_e32 v42, 16, v41
	s_wait_loadcnt 0xb
	v_lshrrev_b32_e32 v4, 16, v7
	v_mul_f16_e32 v18, v65, v7
	s_wait_loadcnt 0xa
	v_lshrrev_b32_e32 v20, 16, v8
	v_mul_f16_e32 v21, v64, v8
	v_mul_f16_e32 v19, v65, v4
	v_fma_f16 v4, v48, v4, -v18
	s_delay_alu instid0(VALU_DEP_2)
	v_fmac_f16_e32 v19, v48, v7
	v_mul_f16_e32 v7, v64, v20
	v_fma_f16 v20, v53, v20, -v21
	s_wait_loadcnt 0x9
	v_lshrrev_b32_e32 v18, 16, v9
	v_mul_f16_e32 v21, v63, v9
	v_pack_b32_f16 v4, v19, v4
	v_fmac_f16_e32 v7, v53, v8
	s_delay_alu instid0(VALU_DEP_4)
	v_mul_f16_e32 v8, v63, v18
	s_wait_loadcnt 0x8
	v_lshrrev_b32_e32 v19, 16, v10
	v_fma_f16 v18, v51, v18, -v21
	v_mul_f16_e32 v21, v62, v10
	v_pack_b32_f16 v7, v7, v20
	v_fmac_f16_e32 v8, v51, v9
	v_mul_f16_e32 v9, v62, v19
	s_wait_loadcnt 0x7
	v_lshrrev_b32_e32 v20, 16, v11
	v_fma_f16 v19, v50, v19, -v21
	v_mul_f16_e32 v27, v61, v11
	v_pack_b32_f16 v8, v8, v18
	v_fmac_f16_e32 v9, v50, v10
	v_mul_f16_e32 v18, v61, v20
	s_wait_loadcnt 0x6
	v_lshrrev_b32_e32 v21, 16, v12
	v_mul_f16_e32 v28, v60, v12
	v_fma_f16 v10, v45, v20, -v27
	v_pack_b32_f16 v9, v9, v19
	v_fmac_f16_e32 v18, v45, v11
	v_mul_f16_e32 v29, v60, v21
	v_fma_f16 v11, v52, v21, -v28
	s_delay_alu instid0(VALU_DEP_3) | instskip(NEXT) | instid1(VALU_DEP_3)
	v_pack_b32_f16 v10, v18, v10
	v_fmac_f16_e32 v29, v52, v12
	s_wait_loadcnt 0x5
	v_lshrrev_b32_e32 v12, 16, v13
	v_mul_f16_e32 v19, v59, v13
	s_delay_alu instid0(VALU_DEP_3)
	v_pack_b32_f16 v11, v29, v11
	s_wait_loadcnt 0x4
	v_lshrrev_b32_e32 v20, 16, v5
	ds_store_b32 v54, v7 offset:864
	ds_store_b32 v54, v8 offset:1728
	;; [unrolled: 1-line block ×5, first 2 shown]
	v_mul_f16_e32 v18, v59, v12
	v_fma_f16 v12, v49, v12, -v19
	v_mul_f16_e32 v19, v57, v5
	v_mul_f16_e32 v7, v57, v20
	s_delay_alu instid0(VALU_DEP_4) | instskip(NEXT) | instid1(VALU_DEP_3)
	v_fmac_f16_e32 v18, v49, v13
	v_fma_f16 v10, v47, v20, -v19
	s_wait_loadcnt 0x3
	v_lshrrev_b32_e32 v8, 16, v6
	v_mul_f16_e32 v9, v58, v6
	v_pack_b32_f16 v11, v18, v12
	v_fmac_f16_e32 v7, v47, v5
	s_delay_alu instid0(VALU_DEP_4) | instskip(NEXT) | instid1(VALU_DEP_4)
	v_mul_f16_e32 v5, v58, v8
	v_fma_f16 v8, v46, v8, -v9
	s_wait_loadcnt 0x2
	v_lshrrev_b32_e32 v9, 16, v14
	v_mul_f16_e32 v12, v56, v14
	ds_store_2addr_b32 v54, v4, v11 offset1:108
	v_fmac_f16_e32 v5, v46, v6
	s_wait_loadcnt 0x1
	v_lshrrev_b32_e32 v4, 16, v2
	s_wait_loadcnt 0x0
	v_lshrrev_b32_e32 v11, 16, v3
	v_mul_f16_e32 v6, v56, v9
	v_fma_f16 v9, v44, v9, -v12
	v_mul_f16_e32 v12, v55, v2
	v_mul_f16_e32 v13, v55, v4
	;; [unrolled: 1-line block ×4, first 2 shown]
	v_fmac_f16_e32 v6, v44, v14
	v_fma_f16 v4, v43, v4, -v12
	v_fmac_f16_e32 v13, v43, v2
	v_fma_f16 v2, v41, v11, -v18
	v_fmac_f16_e32 v19, v41, v3
	v_pack_b32_f16 v3, v7, v10
	v_pack_b32_f16 v5, v5, v8
	;; [unrolled: 1-line block ×5, first 2 shown]
	ds_store_b32 v54, v3 offset:1296
	ds_store_b32 v54, v5 offset:2160
	;; [unrolled: 1-line block ×5, first 2 shown]
	global_wb scope:SCOPE_SE
	s_wait_dscnt 0x0
	s_barrier_signal -1
	s_barrier_wait -1
	global_inv scope:SCOPE_SE
	ds_load_2addr_b32 v[2:3], v54 offset1:108
	ds_load_2addr_b32 v[4:5], v69 offset0:88 offset1:196
	ds_load_2addr_b32 v[6:7], v68 offset0:48 offset1:156
	;; [unrolled: 1-line block ×5, first 2 shown]
	v_and_b32_e32 v14, 0xffff, v15
	v_sub_nc_u16 v15, v0, v16
	v_sub_nc_u16 v16, v1, v17
	v_mul_u32_u24_e32 v17, 6, v1
	global_wb scope:SCOPE_SE
	s_wait_dscnt 0x0
	v_lshlrev_b32_e32 v92, 2, v14
	v_and_b32_e32 v27, 0xff, v15
	v_and_b32_e32 v28, 0xff, v16
	v_lshlrev_b32_e32 v93, 2, v17
	s_barrier_signal -1
	s_barrier_wait -1
	v_mad_co_u64_u32 v[14:15], null, v27, 20, s[10:11]
	v_mad_co_u64_u32 v[20:21], null, v28, 20, s[10:11]
	global_inv scope:SCOPE_SE
	v_pk_add_f16 v16, v3, v7
	v_pk_add_f16 v17, v5, v9
	;; [unrolled: 1-line block ×4, first 2 shown]
	v_pk_add_f16 v6, v6, v10 neg_lo:[0,1] neg_hi:[0,1]
	v_pk_add_f16 v30, v8, v12
	v_pk_add_f16 v19, v4, v8
	;; [unrolled: 1-line block ×3, first 2 shown]
	v_pk_add_f16 v8, v8, v12 neg_lo:[0,1] neg_hi:[0,1]
	v_pk_add_f16 v31, v7, v11
	v_pk_add_f16 v7, v7, v11 neg_lo:[0,1] neg_hi:[0,1]
	v_pk_add_f16 v9, v9, v13 neg_lo:[0,1] neg_hi:[0,1]
	v_pk_add_f16 v11, v16, v11
	v_pk_add_f16 v13, v17, v13
	v_pk_fma_f16 v16, v29, 0.5, v2 op_sel_hi:[1,0,1] neg_lo:[1,0,0] neg_hi:[1,0,0]
	v_pk_mul_f16 v6, 0x3aee, v6 op_sel_hi:[0,1]
	v_pk_fma_f16 v17, v30, 0.5, v4 op_sel_hi:[1,0,1] neg_lo:[1,0,0] neg_hi:[1,0,0]
	v_pk_add_f16 v10, v18, v10
	v_pk_add_f16 v12, v19, v12
	v_pk_fma_f16 v5, v32, 0.5, v5 op_sel_hi:[1,0,1] neg_lo:[1,0,0] neg_hi:[1,0,0]
	v_pk_fma_f16 v3, v31, 0.5, v3 op_sel_hi:[1,0,1] neg_lo:[1,0,0] neg_hi:[1,0,0]
	v_pk_mul_f16 v18, 0x3aee, v7 op_sel_hi:[0,1]
	v_pk_add_f16 v19, v16, v6 op_sel:[0,1] op_sel_hi:[1,0]
	v_pk_add_f16 v16, v16, v6 op_sel:[0,1] op_sel_hi:[1,0] neg_lo:[0,1] neg_hi:[0,1]
	v_pk_fma_f16 v6, 0x3aee, v8, v17 op_sel:[0,0,1] op_sel_hi:[0,1,0]
	v_pk_fma_f16 v8, 0x3aee, v8, v17 op_sel:[0,0,1] op_sel_hi:[0,1,0] neg_lo:[0,1,0] neg_hi:[0,1,0]
	v_pk_add_f16 v4, v10, v12
	v_pk_add_f16 v7, v10, v12 neg_lo:[0,1] neg_hi:[0,1]
	v_pk_fma_f16 v12, 0x3aee, v9, v5 op_sel:[0,0,1] op_sel_hi:[0,1,0]
	v_pk_fma_f16 v5, 0x3aee, v9, v5 op_sel:[0,0,1] op_sel_hi:[0,1,0] neg_lo:[0,1,0] neg_hi:[0,1,0]
	v_pk_add_f16 v10, v3, v18 op_sel:[0,1] op_sel_hi:[1,0]
	v_pk_add_f16 v3, v3, v18 op_sel:[0,1] op_sel_hi:[1,0] neg_lo:[0,1] neg_hi:[0,1]
	v_lshrrev_b32_e32 v17, 16, v6
	v_bfi_b32 v6, 0xffff, v6, v8
	v_mul_f16_e32 v18, 0x3aee, v8
	v_lshrrev_b32_e32 v32, 16, v12
	v_bfi_b32 v12, 0xffff, v12, v5
	v_mul_f16_e32 v33, 0x3aee, v5
	v_pk_mul_f16 v35, v6, 0.5 op_sel_hi:[1,0]
	v_fmac_f16_e32 v18, 0.5, v17
	v_mul_f16_e32 v17, 0xbaee, v17
	v_pk_mul_f16 v36, v12, 0.5 op_sel_hi:[1,0]
	v_fmac_f16_e32 v33, 0.5, v32
	v_mul_f16_e32 v32, 0xbaee, v32
	v_pk_add_f16 v2, v11, v13
	v_pk_add_f16 v9, v11, v13 neg_lo:[0,1] neg_hi:[0,1]
	v_lshrrev_b32_e32 v11, 16, v16
	v_bfi_b32 v13, 0xffff, v16, v19
	v_fmac_f16_e32 v17, 0.5, v8
	v_pk_fma_f16 v8, 0xbaee3aee, v6, v35 op_sel:[0,0,1] op_sel_hi:[1,1,0] neg_lo:[0,0,1] neg_hi:[0,0,1]
	v_lshrrev_b32_e32 v30, 16, v3
	v_fmac_f16_e32 v32, 0.5, v5
	v_pk_fma_f16 v5, 0xbaee3aee, v12, v36 op_sel:[0,0,1] op_sel_hi:[1,1,0] neg_lo:[0,0,1] neg_hi:[0,0,1]
	v_lshrrev_b32_e32 v29, 16, v19
	v_bfi_b32 v31, 0xffff, v3, v10
	v_lshrrev_b32_e32 v34, 16, v10
	v_add_f16_e32 v37, v19, v18
	v_sub_f16_e32 v18, v19, v18
	v_add_f16_e32 v19, v10, v33
	v_sub_f16_e32 v12, v10, v33
	v_add_f16_e32 v10, v11, v17
	v_pk_add_f16 v6, v13, v8
	v_lshrrev_b32_e32 v11, 16, v8
	v_pack_b32_f16 v13, v17, v8
	v_add_f16_e32 v17, v30, v32
	v_lshrrev_b32_e32 v30, 16, v5
	v_pack_b32_f16 v32, v32, v5
	v_sub_f16_e32 v11, v29, v11
	v_pk_add_f16 v13, v16, v13 op_sel:[1,0] op_sel_hi:[0,1] neg_lo:[0,1] neg_hi:[0,1]
	v_pk_add_f16 v8, v31, v5
	v_sub_f16_e32 v16, v34, v30
	v_pk_add_f16 v29, v3, v32 op_sel:[1,0] op_sel_hi:[0,1] neg_lo:[0,1] neg_hi:[0,1]
	v_pack_b32_f16 v5, v37, v10
	v_alignbit_b32 v11, v11, v13, 16
	v_pack_b32_f16 v10, v18, v13
	v_pack_b32_f16 v3, v19, v17
	v_alignbit_b32 v13, v16, v29, 16
	v_pack_b32_f16 v12, v12, v29
	ds_store_2addr_b64 v92, v[4:5], v[6:7] offset1:1
	ds_store_b64 v92, v[10:11] offset:16
	ds_store_2addr_b64 v93, v[2:3], v[8:9] offset1:1
	ds_store_b64 v93, v[12:13] offset:16
	global_wb scope:SCOPE_SE
	s_wait_dscnt 0x0
	s_barrier_signal -1
	s_barrier_wait -1
	global_inv scope:SCOPE_SE
	s_clause 0x3
	global_load_b128 v[16:19], v[14:15], off
	global_load_b32 v74, v[14:15], off offset:16
	global_load_b128 v[12:15], v[20:21], off
	global_load_b32 v77, v[20:21], off offset:16
	v_mul_lo_u16 v2, v22, 57
	v_mul_lo_u16 v3, v23, 57
	v_and_b32_e32 v22, 0xffff, v26
	s_delay_alu instid0(VALU_DEP_3) | instskip(NEXT) | instid1(VALU_DEP_3)
	v_lshrrev_b16 v11, 11, v2
	v_lshrrev_b16 v10, 11, v3
	v_and_b32_e32 v3, 0xffff, v25
	s_delay_alu instid0(VALU_DEP_4) | instskip(NEXT) | instid1(VALU_DEP_4)
	v_mul_u32_u24_e32 v29, 36, v22
	v_mul_lo_u16 v2, v11, 36
	s_delay_alu instid0(VALU_DEP_4) | instskip(NEXT) | instid1(VALU_DEP_4)
	v_mul_lo_u16 v4, v10, 36
	v_mul_u32_u24_e32 v9, 36, v3
	s_delay_alu instid0(VALU_DEP_4) | instskip(NEXT) | instid1(VALU_DEP_4)
	v_add_lshl_u32 v79, v29, v28, 2
	v_sub_nc_u16 v8, v0, v2
	s_delay_alu instid0(VALU_DEP_4)
	v_sub_nc_u16 v23, v1, v4
	ds_load_2addr_b32 v[0:1], v69 offset0:88 offset1:196
	ds_load_2addr_b32 v[2:3], v68 offset0:48 offset1:156
	;; [unrolled: 1-line block ×5, first 2 shown]
	v_add_lshl_u32 v78, v9, v27, 2
	v_and_b32_e32 v8, 0xff, v8
	v_and_b32_e32 v9, 0xff, v23
	ds_load_2addr_b32 v[22:23], v54 offset1:108
	global_wb scope:SCOPE_SE
	s_wait_loadcnt_dscnt 0x0
	s_barrier_signal -1
	v_mad_co_u64_u32 v[25:26], null, v8, 20, s[10:11]
	v_mad_co_u64_u32 v[27:28], null, v9, 20, s[10:11]
	s_barrier_wait -1
	global_inv scope:SCOPE_SE
	v_lshrrev_b32_e32 v29, 16, v0
	v_lshrrev_b32_e32 v30, 16, v2
	;; [unrolled: 1-line block ×22, first 2 shown]
	v_mul_f16_e32 v72, v29, v103
	v_mul_f16_e32 v73, v0, v103
	;; [unrolled: 1-line block ×19, first 2 shown]
	v_fma_f16 v0, v0, v16, -v72
	v_fma_f16 v2, v2, v17, -v75
	v_fma_f16 v4, v4, v18, -v81
	v_fmac_f16_e32 v73, v29, v16
	v_fmac_f16_e32 v80, v30, v17
	;; [unrolled: 1-line block ×4, first 2 shown]
	v_fma_f16 v6, v6, v19, -v88
	v_fmac_f16_e32 v91, v33, v74
	v_fma_f16 v20, v20, v74, -v105
	v_mul_f16_e32 v90, v37, v96
	v_fma_f16 v1, v1, v12, -v76
	v_fma_f16 v3, v3, v13, -v82
	;; [unrolled: 1-line block ×3, first 2 shown]
	v_fmac_f16_e32 v83, v34, v12
	v_fmac_f16_e32 v85, v35, v13
	;; [unrolled: 1-line block ×4, first 2 shown]
	v_fma_f16 v21, v21, v77, -v106
	v_fmac_f16_e32 v107, v38, v77
	v_add_f16_e32 v29, v22, v2
	v_add_f16_e32 v30, v2, v6
	;; [unrolled: 1-line block ×8, first 2 shown]
	v_fma_f16 v7, v7, v15, -v90
	v_sub_f16_e32 v31, v80, v89
	v_sub_f16_e32 v38, v86, v91
	v_add_f16_e32 v72, v23, v3
	v_add_f16_e32 v76, v40, v85
	;; [unrolled: 1-line block ×3, first 2 shown]
	v_sub_f16_e32 v81, v85, v104
	v_add_f16_e32 v82, v1, v5
	v_add_f16_e32 v84, v5, v21
	;; [unrolled: 1-line block ×4, first 2 shown]
	v_sub_f16_e32 v2, v2, v6
	v_sub_f16_e32 v4, v4, v20
	v_add_f16_e32 v6, v29, v6
	v_add_f16_e32 v29, v32, v89
	v_fmac_f16_e32 v39, -0.5, v33
	v_add_f16_e32 v20, v34, v20
	v_fmac_f16_e32 v0, -0.5, v35
	;; [unrolled: 2-line block ×3, first 2 shown]
	v_fma_f16 v22, -0.5, v30, v22
	v_add_f16_e32 v75, v3, v7
	v_sub_f16_e32 v3, v3, v7
	v_sub_f16_e32 v5, v5, v21
	;; [unrolled: 1-line block ×3, first 2 shown]
	v_add_f16_e32 v7, v72, v7
	v_add_f16_e32 v33, v76, v104
	v_fmac_f16_e32 v40, -0.5, v80
	v_add_f16_e32 v21, v82, v21
	v_fmac_f16_e32 v1, -0.5, v84
	;; [unrolled: 2-line block ×3, first 2 shown]
	v_fmamk_f16 v34, v31, 0x3aee, v22
	v_fmac_f16_e32 v22, 0xbaee, v31
	v_fmamk_f16 v31, v2, 0xbaee, v39
	v_fmac_f16_e32 v39, 0x3aee, v2
	v_fmamk_f16 v2, v38, 0x3aee, v0
	v_fmamk_f16 v35, v4, 0xbaee, v73
	v_fmac_f16_e32 v73, 0x3aee, v4
	v_add_f16_e32 v4, v6, v20
	v_add_f16_e32 v36, v29, v32
	v_fmac_f16_e32 v0, 0xbaee, v38
	v_sub_f16_e32 v6, v6, v20
	v_sub_f16_e32 v20, v29, v32
	v_fmamk_f16 v32, v3, 0xbaee, v40
	v_fmac_f16_e32 v40, 0x3aee, v3
	v_fmamk_f16 v3, v87, 0x3aee, v1
	v_fmamk_f16 v37, v5, 0xbaee, v83
	v_fmac_f16_e32 v83, 0x3aee, v5
	v_add_f16_e32 v5, v7, v21
	v_add_f16_e32 v38, v33, v30
	v_fmac_f16_e32 v1, 0xbaee, v87
	v_sub_f16_e32 v7, v7, v21
	v_sub_f16_e32 v21, v33, v30
	v_mul_f16_e32 v30, 0x3aee, v35
	v_pack_b32_f16 v4, v4, v36
	v_mul_f16_e32 v36, 0xbaee, v2
	v_mul_f16_e32 v33, -0.5, v0
	v_pack_b32_f16 v6, v6, v20
	v_mul_f16_e32 v20, -0.5, v73
	v_fmac_f16_e32 v23, -0.5, v75
	v_pack_b32_f16 v5, v5, v38
	v_mul_f16_e32 v38, 0x3aee, v37
	v_mul_f16_e32 v72, 0xbaee, v3
	v_pack_b32_f16 v7, v7, v21
	v_mul_f16_e32 v21, -0.5, v1
	v_mul_f16_e32 v75, -0.5, v83
	v_fmac_f16_e32 v30, 0.5, v2
	v_fmac_f16_e32 v36, 0.5, v35
	v_fmac_f16_e32 v33, 0x3aee, v73
	v_fmac_f16_e32 v20, 0xbaee, v0
	v_fmamk_f16 v29, v81, 0x3aee, v23
	v_fmac_f16_e32 v38, 0.5, v3
	v_fmac_f16_e32 v72, 0.5, v37
	v_fmac_f16_e32 v23, 0xbaee, v81
	v_fmac_f16_e32 v21, 0x3aee, v83
	;; [unrolled: 1-line block ×3, first 2 shown]
	v_add_f16_e32 v0, v34, v30
	v_add_f16_e32 v2, v31, v36
	;; [unrolled: 1-line block ×4, first 2 shown]
	v_sub_f16_e32 v30, v34, v30
	v_sub_f16_e32 v22, v22, v33
	;; [unrolled: 1-line block ×4, first 2 shown]
	v_add_f16_e32 v33, v29, v38
	v_add_f16_e32 v35, v32, v72
	;; [unrolled: 1-line block ×4, first 2 shown]
	v_sub_f16_e32 v29, v29, v38
	v_sub_f16_e32 v21, v23, v21
	;; [unrolled: 1-line block ×4, first 2 shown]
	v_pack_b32_f16 v0, v0, v2
	v_pack_b32_f16 v1, v1, v3
	;; [unrolled: 1-line block ×8, first 2 shown]
	ds_store_2addr_b32 v78, v4, v0 offset1:6
	ds_store_2addr_b32 v78, v1, v6 offset0:12 offset1:18
	ds_store_2addr_b32 v78, v2, v3 offset0:24 offset1:30
	ds_store_2addr_b32 v79, v5, v20 offset1:6
	ds_store_2addr_b32 v79, v22, v7 offset0:12 offset1:18
	ds_store_2addr_b32 v79, v23, v21 offset0:24 offset1:30
	global_wb scope:SCOPE_SE
	s_wait_dscnt 0x0
	s_barrier_signal -1
	s_barrier_wait -1
	global_inv scope:SCOPE_SE
	s_clause 0x3
	global_load_b128 v[4:7], v[25:26], off offset:120
	global_load_b128 v[0:3], v[27:28], off offset:120
	global_load_b32 v72, v[25:26], off offset:136
	global_load_b32 v73, v[27:28], off offset:136
	v_and_b32_e32 v27, 0xffff, v11
	ds_load_2addr_b32 v[20:21], v69 offset0:88 offset1:196
	ds_load_2addr_b32 v[22:23], v68 offset0:48 offset1:156
	;; [unrolled: 1-line block ×3, first 2 shown]
	v_and_b32_e32 v29, 0xffff, v10
	ds_load_2addr_b32 v[10:11], v66 offset0:96 offset1:204
	v_mad_co_u64_u32 v[31:32], null, v71, 20, s[10:11]
	v_mul_u32_u24_e32 v33, 0xd8, v27
	ds_load_2addr_b32 v[27:28], v67 offset0:56 offset1:164
	v_mul_u32_u24_e32 v34, 0xd8, v29
	ds_load_2addr_b32 v[29:30], v54 offset1:108
	global_wb scope:SCOPE_SE
	s_wait_loadcnt_dscnt 0x0
	v_add_lshl_u32 v91, v33, v8, 2
	s_barrier_signal -1
	v_add_lshl_u32 v90, v34, v9, 2
	s_barrier_wait -1
	global_inv scope:SCOPE_SE
	v_lshrrev_b32_e32 v8, 16, v20
	v_lshrrev_b32_e32 v9, 16, v22
	;; [unrolled: 1-line block ×22, first 2 shown]
	v_mul_f16_e32 v80, v8, v112
	v_mul_f16_e32 v81, v20, v112
	;; [unrolled: 1-line block ×20, first 2 shown]
	v_fma_f16 v20, v20, v4, -v80
	v_fma_f16 v21, v21, v0, -v82
	;; [unrolled: 1-line block ×9, first 2 shown]
	v_fmac_f16_e32 v81, v8, v4
	v_fmac_f16_e32 v84, v9, v5
	;; [unrolled: 1-line block ×9, first 2 shown]
	v_fma_f16 v10, v10, v7, -v116
	v_fmac_f16_e32 v119, v38, v3
	v_add_f16_e32 v8, v23, v11
	v_add_f16_e32 v9, v30, v23
	v_add_f16_e32 v33, v26, v28
	v_add_f16_e32 v34, v21, v26
	v_add_f16_e32 v36, v86, v115
	v_add_f16_e32 v37, v29, v22
	v_add_f16_e32 v39, v76, v84
	v_add_f16_e32 v40, v84, v118
	v_sub_f16_e32 v80, v84, v118
	v_add_f16_e32 v82, v20, v25
	v_add_f16_e32 v83, v25, v27
	;; [unrolled: 1-line block ×7, first 2 shown]
	v_sub_f16_e32 v22, v22, v10
	v_sub_f16_e32 v25, v25, v27
	;; [unrolled: 1-line block ×5, first 2 shown]
	v_add_f16_e32 v88, v88, v119
	v_sub_f16_e32 v115, v115, v123
	v_sub_f16_e32 v26, v26, v28
	v_fmac_f16_e32 v30, -0.5, v8
	v_fmac_f16_e32 v21, -0.5, v33
	v_add_f16_e32 v8, v37, v10
	v_add_f16_e32 v10, v39, v118
	v_fmac_f16_e32 v76, -0.5, v40
	v_add_f16_e32 v27, v82, v27
	v_fmac_f16_e32 v20, -0.5, v83
	;; [unrolled: 2-line block ×3, first 2 shown]
	v_add_f16_e32 v9, v9, v11
	v_add_f16_e32 v11, v89, v119
	;; [unrolled: 1-line block ×4, first 2 shown]
	v_fmac_f16_e32 v86, -0.5, v35
	v_fma_f16 v29, -0.5, v38, v29
	v_fmac_f16_e32 v75, -0.5, v88
	v_fmamk_f16 v36, v115, 0x3aee, v21
	v_fmac_f16_e32 v21, 0xbaee, v115
	v_fmamk_f16 v38, v22, 0xbaee, v76
	v_fmac_f16_e32 v76, 0x3aee, v22
	;; [unrolled: 2-line block ×4, first 2 shown]
	v_add_f16_e32 v25, v8, v27
	v_sub_f16_e32 v8, v8, v27
	v_add_f16_e32 v27, v10, v33
	v_sub_f16_e32 v10, v10, v33
	;; [unrolled: 2-line block ×4, first 2 shown]
	v_fmamk_f16 v37, v26, 0xbaee, v86
	v_fmac_f16_e32 v86, 0x3aee, v26
	v_fmamk_f16 v34, v23, 0xbaee, v75
	v_fmac_f16_e32 v75, 0x3aee, v23
	v_mul_f16_e32 v23, -0.5, v21
	v_pack_b32_f16 v25, v25, v27
	v_pack_b32_f16 v8, v8, v10
	;; [unrolled: 1-line block ×4, first 2 shown]
	v_mul_f16_e32 v11, 0x3aee, v39
	v_mul_f16_e32 v27, 0xbaee, v22
	v_mul_f16_e32 v28, -0.5, v20
	v_mul_f16_e32 v33, -0.5, v81
	v_fmamk_f16 v26, v80, 0x3aee, v29
	v_fmac_f16_e32 v29, 0xbaee, v80
	v_mul_f16_e32 v40, 0x3aee, v37
	v_mul_f16_e32 v80, 0xbaee, v36
	v_mul_f16_e32 v82, -0.5, v86
	v_fmamk_f16 v35, v114, 0x3aee, v30
	v_fmac_f16_e32 v30, 0xbaee, v114
	v_fmac_f16_e32 v23, 0x3aee, v86
	v_fmac_f16_e32 v11, 0.5, v22
	v_fmac_f16_e32 v27, 0.5, v39
	v_fmac_f16_e32 v28, 0x3aee, v81
	v_fmac_f16_e32 v33, 0xbaee, v20
	v_fmac_f16_e32 v40, 0.5, v36
	v_fmac_f16_e32 v80, 0.5, v37
	v_fmac_f16_e32 v82, 0xbaee, v21
	v_add_f16_e32 v20, v30, v23
	v_sub_f16_e32 v21, v30, v23
	v_add_f16_e32 v22, v26, v11
	v_sub_f16_e32 v11, v26, v11
	;; [unrolled: 2-line block ×3, first 2 shown]
	v_add_f16_e32 v28, v38, v27
	v_add_f16_e32 v29, v76, v33
	v_sub_f16_e32 v27, v38, v27
	v_sub_f16_e32 v30, v76, v33
	v_add_f16_e32 v33, v35, v40
	v_add_f16_e32 v36, v34, v80
	;; [unrolled: 1-line block ×3, first 2 shown]
	v_sub_f16_e32 v38, v75, v82
	v_sub_f16_e32 v35, v35, v40
	;; [unrolled: 1-line block ×3, first 2 shown]
	v_pack_b32_f16 v22, v22, v28
	v_pack_b32_f16 v23, v23, v29
	;; [unrolled: 1-line block ×8, first 2 shown]
	ds_store_2addr_b32 v91, v25, v22 offset1:36
	ds_store_2addr_b32 v91, v23, v8 offset0:72 offset1:108
	ds_store_2addr_b32 v91, v11, v26 offset0:144 offset1:180
	ds_store_2addr_b32 v90, v10, v27 offset1:36
	ds_store_2addr_b32 v90, v20, v9 offset0:72 offset1:108
	ds_store_2addr_b32 v90, v28, v21 offset0:144 offset1:180
	global_wb scope:SCOPE_SE
	s_wait_dscnt 0x0
	s_barrier_signal -1
	s_barrier_wait -1
	global_inv scope:SCOPE_SE
	s_clause 0x3
	global_load_b128 v[8:11], v[31:32], off offset:840
	global_load_b128 v[20:23], v[31:32], off offset:3000
	global_load_b32 v76, v[31:32], off offset:856
	global_load_b32 v75, v[31:32], off offset:3016
	ds_load_2addr_b32 v[25:26], v69 offset0:88 offset1:196
	ds_load_2addr_b32 v[27:28], v68 offset0:48 offset1:156
	;; [unrolled: 1-line block ×5, first 2 shown]
	ds_load_2addr_b32 v[35:36], v54 offset1:108
	s_wait_dscnt 0x5
	v_lshrrev_b32_e32 v37, 16, v25
	v_lshrrev_b32_e32 v38, 16, v26
	s_wait_dscnt 0x4
	v_lshrrev_b32_e32 v39, 16, v27
	v_lshrrev_b32_e32 v40, 16, v28
	;; [unrolled: 3-line block ×3, first 2 shown]
	s_wait_dscnt 0x2
	v_lshrrev_b32_e32 v117, 16, v32
	s_wait_dscnt 0x1
	v_lshrrev_b32_e32 v118, 16, v33
	v_lshrrev_b32_e32 v119, 16, v34
	v_lshrrev_b32_e32 v116, 16, v31
	s_wait_dscnt 0x0
	v_lshrrev_b32_e32 v120, 16, v36
	v_lshrrev_b32_e32 v121, 16, v35
	s_wait_loadcnt 0x3
	v_lshrrev_b32_e32 v85, 16, v8
	s_wait_loadcnt 0x2
	v_lshrrev_b32_e32 v80, 16, v20
	v_lshrrev_b32_e32 v86, 16, v9
	;; [unrolled: 1-line block ×7, first 2 shown]
	s_wait_loadcnt 0x1
	v_lshrrev_b32_e32 v89, 16, v76
	s_wait_loadcnt 0x0
	v_lshrrev_b32_e32 v84, 16, v75
	v_mul_f16_e32 v122, v37, v85
	v_mul_f16_e32 v123, v38, v80
	v_mul_f16_e32 v125, v39, v86
	v_mul_f16_e32 v124, v25, v85
	v_mul_f16_e32 v126, v40, v81
	v_mul_f16_e32 v127, v26, v80
	v_mul_f16_e64 v128, v27, v86
	v_mul_f16_e64 v129, v28, v81
	;; [unrolled: 1-line block ×9, first 2 shown]
	v_fma_f16 v25, v25, v8, -v122
	v_fma_f16 v26, v26, v20, -v123
	v_mul_f16_e32 v122, v119, v84
	v_mul_f16_e32 v123, v33, v89
	v_fma_f16 v27, v27, v9, -v125
	v_mul_f16_e32 v125, v34, v84
	v_mul_f16_e64 v134, v116, v88
	v_mul_f16_e64 v137, v32, v83
	v_fma_f16 v28, v28, v21, -v126
	v_fma_f16 v29, v29, v10, -v130
	;; [unrolled: 1-line block ×6, first 2 shown]
	v_fmac_f16_e32 v124, v37, v8
	v_fmac_f16_e64 v128, v39, v9
	v_fmac_f16_e32 v127, v38, v20
	v_fmac_f16_e64 v129, v40, v21
	v_fmac_f16_e64 v133, v115, v22
	v_fmac_f16_e32 v125, v119, v75
	v_fmac_f16_e64 v132, v114, v10
	v_fmac_f16_e64 v136, v116, v11
	v_fmac_f16_e32 v123, v118, v76
	v_fma_f16 v31, v31, v11, -v134
	v_fmac_f16_e64 v137, v117, v23
	v_add_f16_e32 v37, v28, v32
	v_add_f16_e32 v38, v36, v28
	;; [unrolled: 1-line block ×4, first 2 shown]
	v_add_f16_e64 v114, v133, v125
	v_add_f16_e64 v115, v127, v133
	v_sub_f16_e64 v117, v133, v125
	v_add_f16_e32 v119, v35, v27
	v_add_f16_e64 v122, v121, v128
	v_add_f16_e64 v126, v128, v136
	;; [unrolled: 1-line block ×7, first 2 shown]
	v_sub_f16_e64 v116, v129, v137
	v_sub_f16_e32 v30, v30, v34
	v_add_f16_e32 v118, v27, v31
	v_sub_f16_e32 v27, v27, v31
	v_sub_f16_e32 v29, v29, v33
	v_sub_f16_e64 v132, v132, v123
	v_sub_f16_e32 v28, v28, v32
	v_add_f16_e64 v129, v129, v137
	v_fmac_f16_e32 v36, -0.5, v37
	v_fmac_f16_e32 v26, -0.5, v39
	v_add_f16_e32 v31, v119, v31
	v_add_f16_e64 v37, v122, v136
	v_fmac_f16_e32 v121, -0.5, v126
	v_add_f16_e64 v33, v130, v33
	v_fmac_f16_e64 v25, -0.5, v131
	v_add_f16_e64 v39, v133, v123
	v_fmac_f16_e64 v124, -0.5, v134
	v_add_f16_e32 v34, v40, v34
	v_add_f16_e32 v40, v115, v125
	;; [unrolled: 1-line block ×3, first 2 shown]
	v_add_f16_e64 v38, v135, v137
	v_fmac_f16_e32 v127, -0.5, v114
	v_fma_f16 v35, -0.5, v118, v35
	v_fmac_f16_e64 v120, -0.5, v129
	v_fmamk_f16 v115, v117, 0x3aee, v26
	v_fmac_f16_e32 v26, 0xbaee, v117
	v_fmamk_f16 v117, v27, 0xbaee, v121
	v_fmac_f16_e32 v121, 0x3aee, v27
	v_fma_f16 v27, 0x3aee, v132, v25
	v_fmac_f16_e64 v25, 0xbaee, v132
	v_add_f16_e32 v118, v31, v33
	v_sub_f16_e32 v31, v31, v33
	v_add_f16_e32 v33, v37, v39
	v_sub_f16_e32 v37, v37, v39
	v_fmamk_f16 v39, v29, 0xbaee, v124
	v_fmac_f16_e32 v124, 0x3aee, v29
	v_add_f16_e32 v29, v32, v34
	v_sub_f16_e32 v32, v32, v34
	v_add_f16_e32 v34, v38, v40
	v_sub_f16_e32 v38, v38, v40
	v_sub_f16_e64 v128, v128, v136
	v_fmamk_f16 v114, v116, 0x3aee, v36
	v_fmac_f16_e32 v36, 0xbaee, v116
	v_fmamk_f16 v116, v30, 0xbaee, v127
	v_fmac_f16_e32 v127, 0x3aee, v30
	;; [unrolled: 2-line block ×3, first 2 shown]
	v_mul_f16_e32 v28, -0.5, v26
	v_pack_b32_f16 v31, v31, v37
	v_pack_b32_f16 v29, v29, v34
	v_pack_b32_f16 v32, v32, v38
	v_mul_f16_e32 v34, 0x3aee, v39
	v_mul_f16_e32 v37, 0xbaee, v27
	v_mul_f16_e32 v38, -0.5, v25
	v_pack_b32_f16 v33, v118, v33
	v_mul_f16_e32 v118, -0.5, v124
	v_fma_f16 v30, 0x3aee, v128, v35
	v_fmac_f16_e64 v35, 0xbaee, v128
	v_mul_f16_e32 v119, 0x3aee, v116
	v_mul_f16_e32 v122, 0xbaee, v115
	v_mul_f16_e32 v123, -0.5, v127
	v_fmac_f16_e32 v28, 0x3aee, v127
	v_fmac_f16_e32 v34, 0.5, v27
	v_fmac_f16_e32 v37, 0.5, v39
	v_fmac_f16_e32 v38, 0x3aee, v124
	v_fmac_f16_e32 v118, 0xbaee, v25
	v_fmac_f16_e32 v119, 0.5, v115
	v_fmac_f16_e32 v122, 0.5, v116
	v_fmac_f16_e32 v123, 0xbaee, v26
	v_add_f16_e32 v25, v36, v28
	v_sub_f16_e32 v26, v36, v28
	v_add_f16_e32 v27, v30, v34
	v_sub_f16_e32 v28, v30, v34
	v_add_f16_e32 v30, v35, v38
	v_sub_f16_e32 v34, v35, v38
	v_add_f16_e32 v35, v117, v37
	v_sub_f16_e32 v36, v117, v37
	v_add_f16_e32 v37, v121, v118
	v_sub_f16_e32 v38, v121, v118
	v_add_f16_e32 v39, v114, v119
	v_sub_f16_e32 v114, v114, v119
	v_add_f16_e32 v115, v40, v122
	v_sub_f16_e32 v40, v40, v122
	v_add_f16_e32 v116, v120, v123
	v_sub_f16_e32 v117, v120, v123
	v_pack_b32_f16 v27, v27, v35
	v_pack_b32_f16 v30, v30, v37
	;; [unrolled: 1-line block ×8, first 2 shown]
	ds_store_b32 v54, v27 offset:864
	ds_store_b32 v54, v30 offset:1728
	;; [unrolled: 1-line block ×5, first 2 shown]
	ds_store_2addr_b32 v54, v33, v29 offset1:108
	ds_store_b32 v54, v35 offset:1296
	ds_store_b32 v54, v25 offset:2160
	;; [unrolled: 1-line block ×5, first 2 shown]
	global_wb scope:SCOPE_SE
	s_wait_dscnt 0x0
	s_barrier_signal -1
	s_barrier_wait -1
	global_inv scope:SCOPE_SE
	s_clause 0xb
	global_load_b32 v27, v54, s[8:9] offset:5184
	global_load_b32 v35, v54, s[2:3] offset:432
	;; [unrolled: 1-line block ×12, first 2 shown]
	ds_load_2addr_b32 v[25:26], v54 offset1:108
	s_wait_dscnt 0x0
	v_lshrrev_b32_e32 v29, 16, v25
	v_lshrrev_b32_e32 v119, 16, v26
	s_wait_loadcnt 0x9
	v_lshrrev_b32_e32 v120, 16, v36
	s_wait_loadcnt 0x7
	;; [unrolled: 2-line block ×5, first 2 shown]
	v_lshrrev_b32_e32 v125, 16, v114
	v_lshrrev_b32_e32 v28, 16, v27
	s_wait_loadcnt 0x1
	v_lshrrev_b32_e32 v126, 16, v117
	s_delay_alu instid0(VALU_DEP_2) | instskip(SKIP_1) | instid1(VALU_DEP_2)
	v_mul_f16_e32 v30, v25, v28
	v_mul_f16_e32 v28, v29, v28
	v_fmac_f16_e32 v30, v29, v27
	s_delay_alu instid0(VALU_DEP_2) | instskip(NEXT) | instid1(VALU_DEP_1)
	v_fma_f16 v25, v25, v27, -v28
	v_pack_b32_f16 v25, v25, v30
	ds_store_b32 v54, v25
	v_lshrrev_b32_e32 v25, 16, v35
	ds_load_2addr_b32 v[27:28], v68 offset0:48 offset1:156
	ds_load_2addr_b32 v[29:30], v69 offset0:88 offset1:196
	;; [unrolled: 1-line block ×4, first 2 shown]
	v_mul_f16_e32 v122, v119, v25
	v_mul_f16_e32 v25, v26, v25
	s_delay_alu instid0(VALU_DEP_2) | instskip(NEXT) | instid1(VALU_DEP_2)
	v_fma_f16 v26, v26, v35, -v122
	v_fmac_f16_e32 v25, v119, v35
	v_lshrrev_b32_e32 v35, 16, v115
	v_lshrrev_b32_e32 v119, 16, v116
	v_lshrrev_b32_e32 v122, 16, v37
	s_delay_alu instid0(VALU_DEP_4)
	v_pack_b32_f16 v127, v26, v25
	ds_load_2addr_b32 v[25:26], v67 offset0:56 offset1:164
	s_wait_dscnt 0x4
	v_lshrrev_b32_e32 v128, 16, v27
	v_mul_f16_e64 v129, v27, v120
	s_wait_dscnt 0x3
	v_lshrrev_b32_e32 v130, 16, v30
	v_mul_f16_e64 v131, v30, v121
	;; [unrolled: 3-line block ×4, first 2 shown]
	v_lshrrev_b32_e32 v136, 16, v32
	v_mul_f16_e64 v137, v32, v125
	v_lshrrev_b32_e32 v138, 16, v29
	v_mul_f16_e64 v120, v128, v120
	v_fmac_f16_e64 v129, v128, v36
	v_mul_f16_e64 v128, v29, v35
	v_mul_f16_e64 v121, v130, v121
	v_fmac_f16_e64 v131, v130, v38
	v_lshrrev_b32_e32 v130, 16, v33
	v_mul_f16_e64 v123, v132, v123
	v_fmac_f16_e64 v133, v132, v39
	v_mul_f16_e64 v132, v33, v119
	v_mul_f16_e64 v124, v134, v124
	v_fmac_f16_e64 v135, v134, v40
	;; [unrolled: 6-line block ×3, first 2 shown]
	s_wait_dscnt 0x0
	v_lshrrev_b32_e32 v138, 16, v25
	v_mul_f16_e64 v119, v130, v119
	v_fmac_f16_e64 v132, v130, v116
	v_mul_f16_e64 v130, v25, v126
	v_mul_f16_e64 v122, v134, v122
	v_fmac_f16_e64 v136, v134, v37
	s_wait_loadcnt 0x0
	v_lshrrev_b32_e32 v134, 16, v118
	v_mul_f16_e64 v126, v138, v126
	v_fmac_f16_e64 v130, v138, v117
	v_lshrrev_b32_e32 v138, 16, v26
	v_fma_f16 v27, v27, v36, -v120
	v_mul_f16_e64 v139, v26, v134
	v_fma_f16 v30, v30, v38, -v121
	v_fma_f16 v31, v31, v39, -v123
	v_mul_f16_e64 v134, v138, v134
	v_fma_f16 v34, v34, v40, -v124
	v_fma_f16 v32, v32, v114, -v125
	v_fma_f16 v25, v25, v117, -v126
	v_fma_f16 v29, v29, v115, -v35
	v_fmac_f16_e64 v139, v138, v118
	v_fma_f16 v33, v33, v116, -v119
	v_fma_f16 v28, v28, v37, -v122
	;; [unrolled: 1-line block ×3, first 2 shown]
	v_add_nc_u32_e32 v36, 0x400, v54
	v_pack_b32_f16 v27, v27, v129
	v_pack_b32_f16 v30, v30, v131
	v_add_nc_u32_e32 v38, 0xa00, v54
	v_pack_b32_f16 v31, v31, v133
	v_pack_b32_f16 v34, v34, v135
	;; [unrolled: 3-line block ×3, first 2 shown]
	v_pack_b32_f16 v29, v29, v128
	v_pack_b32_f16 v33, v33, v132
	;; [unrolled: 1-line block ×4, first 2 shown]
	ds_store_2addr_b32 v36, v30, v27 offset0:68 offset1:176
	ds_store_2addr_b32 v38, v34, v31 offset0:116 offset1:224
	;; [unrolled: 1-line block ×5, first 2 shown]
	ds_store_b32 v54, v26 offset:4752
	global_wb scope:SCOPE_SE
	s_wait_dscnt 0x0
	s_barrier_signal -1
	s_barrier_wait -1
	global_inv scope:SCOPE_SE
	ds_load_2addr_b32 v[29:30], v68 offset0:48 offset1:156
	ds_load_2addr_b32 v[27:28], v66 offset0:96 offset1:204
	ds_load_2addr_b32 v[25:26], v54 offset1:108
	ds_load_2addr_b32 v[35:36], v70 offset0:136 offset1:244
	ds_load_2addr_b32 v[31:32], v67 offset0:56 offset1:164
	;; [unrolled: 1-line block ×3, first 2 shown]
	v_mad_co_u64_u32 v[39:40], null, s4, v71, 0
	v_mad_co_u64_u32 v[37:38], null, s6, v24, 0
	global_wb scope:SCOPE_SE
	s_wait_dscnt 0x0
	s_barrier_signal -1
	s_barrier_wait -1
	global_inv scope:SCOPE_SE
	v_pk_add_f16 v114, v29, v27
	v_pk_add_f16 v115, v25, v29
	;; [unrolled: 1-line block ×8, first 2 shown]
	v_pk_add_f16 v35, v35, v31 neg_lo:[0,1] neg_hi:[0,1]
	v_pk_fma_f16 v33, v118, 0.5, v33 op_sel_hi:[1,0,1] neg_lo:[1,0,0] neg_hi:[1,0,0]
	v_pk_add_f16 v29, v29, v27 neg_lo:[0,1] neg_hi:[0,1]
	v_pk_add_f16 v36, v36, v32 neg_lo:[0,1] neg_hi:[0,1]
	v_pk_fma_f16 v25, v114, 0.5, v25 op_sel_hi:[1,0,1] neg_lo:[1,0,0] neg_hi:[1,0,0]
	v_pk_fma_f16 v34, v119, 0.5, v34 op_sel_hi:[1,0,1] neg_lo:[1,0,0] neg_hi:[1,0,0]
	v_pk_add_f16 v30, v30, v28 neg_lo:[0,1] neg_hi:[0,1]
	v_pk_add_f16 v27, v115, v27
	v_pk_add_f16 v28, v116, v28
	v_pk_fma_f16 v26, v117, 0.5, v26 op_sel_hi:[1,0,1] neg_lo:[1,0,0] neg_hi:[1,0,0]
	v_pk_add_f16 v31, v120, v31
	v_pk_add_f16 v32, v121, v32
	v_pk_fma_f16 v114, 0x3aee, v35, v33 op_sel:[0,0,1] op_sel_hi:[0,1,0] neg_lo:[0,1,0] neg_hi:[0,1,0]
	v_pk_fma_f16 v33, 0x3aee, v35, v33 op_sel:[0,0,1] op_sel_hi:[0,1,0]
	v_pk_fma_f16 v35, 0x3aee, v29, v25 op_sel:[0,0,1] op_sel_hi:[0,1,0] neg_lo:[0,1,0] neg_hi:[0,1,0]
	v_pk_fma_f16 v25, 0x3aee, v29, v25 op_sel:[0,0,1] op_sel_hi:[0,1,0]
	;; [unrolled: 2-line block ×4, first 2 shown]
	v_pk_add_f16 v26, v27, v31 neg_lo:[0,1] neg_hi:[0,1]
	v_pk_add_f16 v27, v27, v31
	v_pk_add_f16 v30, v28, v32 neg_lo:[0,1] neg_hi:[0,1]
	v_pk_add_f16 v31, v28, v32
	v_lshrrev_b32_e32 v28, 16, v114
	v_mul_f16_e32 v32, 0xbaee, v33
	v_pk_mul_f16 v116, 0x3aee, v114 op_sel_hi:[0,1]
	v_lshrrev_b32_e32 v120, 16, v29
	v_pk_mul_f16 v122, 0x3aee, v29 op_sel_hi:[0,1]
	v_lshrrev_b32_e32 v123, 16, v34
	v_mul_f16_e32 v29, -0.5, v29
	v_lshrrev_b32_e32 v117, 16, v33
	v_mul_f16_e32 v114, -0.5, v114
	v_mul_f16_e32 v121, 0xbaee, v34
	v_fmac_f16_e32 v32, 0.5, v28
	v_pk_fma_f16 v28, 0xb8003800, v33, v116 op_sel:[0,0,1] op_sel_hi:[1,1,0]
	v_pk_fma_f16 v33, 0xb8003800, v33, v116 op_sel:[0,0,1] op_sel_hi:[1,1,0] neg_lo:[0,0,1] neg_hi:[0,0,1]
	v_pk_fma_f16 v116, 0xb8003800, v34, v122 op_sel:[0,0,1] op_sel_hi:[1,1,0]
	v_pk_fma_f16 v34, 0xb8003800, v34, v122 op_sel:[0,0,1] op_sel_hi:[1,1,0] neg_lo:[0,0,1] neg_hi:[0,0,1]
	v_fmac_f16_e32 v29, 0x3aee, v123
	v_fmac_f16_e32 v114, 0x3aee, v117
	v_lshrrev_b32_e32 v126, 16, v35
	v_fmac_f16_e32 v121, 0.5, v120
	v_pack_b32_f16 v120, v32, v28
	v_bfi_b32 v28, 0xffff, v28, v33
	v_lshrrev_b32_e32 v117, 16, v36
	v_alignbit_b32 v127, v29, v34, 16
	v_bfi_b32 v34, 0xffff, v116, v34
	v_alignbit_b32 v118, v25, v35, 16
	v_alignbit_b32 v119, v35, v25, 16
	;; [unrolled: 1-line block ×3, first 2 shown]
	v_add_f16_e32 v114, v35, v114
	v_add_f16_e32 v32, v126, v32
	v_pk_add_f16 v28, v25, v28
	v_alignbit_b32 v124, v115, v36, 16
	v_alignbit_b32 v125, v36, v115, 16
	v_add_f16_e32 v29, v36, v29
	v_add_f16_e32 v36, v117, v121
	v_pk_add_f16 v115, v115, v34
	v_pack_b32_f16 v123, v121, v116
	v_pk_add_f16 v33, v118, v120 neg_lo:[0,1] neg_hi:[0,1]
	v_pk_add_f16 v34, v119, v122 neg_lo:[0,1] neg_hi:[0,1]
	v_alignbit_b32 v25, v114, v28, 16
	v_pack_b32_f16 v28, v32, v28
	v_alignbit_b32 v29, v29, v115, 16
	v_pack_b32_f16 v32, v36, v115
	v_pk_add_f16 v35, v124, v123 neg_lo:[0,1] neg_hi:[0,1]
	v_pk_add_f16 v36, v125, v127 neg_lo:[0,1] neg_hi:[0,1]
	ds_store_b64 v92, v[33:34] offset:16
	ds_store_2addr_b64 v92, v[27:28], v[25:26] offset1:1
	ds_store_2addr_b64 v93, v[31:32], v[29:30] offset1:1
	ds_store_b64 v93, v[35:36] offset:16
	global_wb scope:SCOPE_SE
	s_wait_dscnt 0x0
	s_barrier_signal -1
	s_barrier_wait -1
	global_inv scope:SCOPE_SE
	v_mov_b32_e32 v26, v40
	ds_load_2addr_b32 v[27:28], v69 offset0:88 offset1:196
	ds_load_2addr_b32 v[29:30], v68 offset0:48 offset1:156
	;; [unrolled: 1-line block ×4, first 2 shown]
	v_mov_b32_e32 v25, v38
	ds_load_2addr_b32 v[35:36], v67 offset0:56 offset1:164
	ds_load_2addr_b32 v[92:93], v54 offset1:108
	global_wb scope:SCOPE_SE
	s_wait_dscnt 0x0
	s_barrier_signal -1
	s_barrier_wait -1
	v_mad_co_u64_u32 v[24:25], null, s7, v24, v[25:26]
	global_inv scope:SCOPE_SE
	v_mad_co_u64_u32 v[25:26], null, s5, v71, v[26:27]
	v_lshrrev_b32_e32 v26, 16, v27
	v_mul_f16_e32 v38, v103, v27
	v_lshrrev_b32_e32 v40, 16, v29
	v_mul_f16_e32 v71, v102, v29
	;; [unrolled: 2-line block ×9, first 2 shown]
	v_lshrrev_b32_e32 v128, 16, v35
	v_mul_f16_e64 v129, v94, v35
	v_lshrrev_b32_e32 v130, 16, v92
	v_lshrrev_b32_e32 v131, 16, v93
	v_mul_f16_e32 v103, v103, v26
	v_fma_f16 v26, v16, v26, -v38
	v_mul_f16_e32 v38, v102, v40
	v_fma_f16 v40, v17, v40, -v71
	;; [unrolled: 2-line block ×9, first 2 shown]
	v_mul_f16_e64 v94, v94, v128
	v_fma_f16 v119, v74, v128, -v129
	v_fmac_f16_e32 v103, v16, v27
	v_fmac_f16_e32 v38, v17, v29
	;; [unrolled: 1-line block ×9, first 2 shown]
	v_add_f16_e32 v12, v116, v118
	v_fmac_f16_e32 v94, v74, v35
	v_add_f16_e64 v14, v130, v40
	v_add_f16_e32 v15, v40, v102
	v_add_f16_e32 v17, v26, v101
	;; [unrolled: 1-line block ×3, first 2 shown]
	v_add_f16_e64 v27, v131, v115
	v_add_f16_e32 v28, v115, v117
	v_add_f16_e32 v13, v114, v116
	v_fmac_f16_e32 v114, -0.5, v12
	v_add_f16_e32 v12, v14, v102
	v_fmac_f16_e64 v130, -0.5, v15
	v_add_f16_e32 v14, v17, v119
	v_fmac_f16_e32 v26, -0.5, v18
	v_add_f16_e32 v15, v27, v117
	v_add_f16_e32 v17, v98, v96
	v_fmac_f16_e64 v131, -0.5, v28
	v_add_f16_e32 v18, v93, v98
	v_add_f16_e32 v27, v97, v95
	v_sub_f16_e32 v28, v97, v95
	v_add_f16_e32 v31, v100, v97
	v_add_f16_e32 v32, v92, v38
	v_sub_f16_e32 v33, v38, v99
	v_add_f16_e32 v34, v38, v99
	v_add_f16_e32 v35, v103, v71
	;; [unrolled: 1-line block ×3, first 2 shown]
	v_sub_f16_e32 v38, v71, v94
	v_sub_f16_e32 v16, v40, v102
	;; [unrolled: 1-line block ×5, first 2 shown]
	v_add_f16_e32 v13, v13, v118
	v_fmac_f16_e32 v93, -0.5, v17
	v_fmac_f16_e32 v100, -0.5, v27
	v_fmamk_f16 v17, v28, 0x3aee, v114
	v_fmac_f16_e32 v114, 0xbaee, v28
	v_add_f16_e32 v27, v32, v99
	v_fma_f16 v28, 0x3aee, v33, v130
	v_fmac_f16_e64 v130, 0xbaee, v33
	v_add_f16_e32 v32, v35, v94
	v_fmac_f16_e32 v103, -0.5, v36
	v_fmamk_f16 v33, v38, 0x3aee, v26
	v_fmac_f16_e32 v26, 0xbaee, v38
	v_add_f16_e32 v35, v12, v14
	v_sub_f16_e32 v12, v12, v14
	v_fma_f16 v14, -0.5, v34, v92
	v_add_f16_e32 v18, v18, v96
	v_add_f16_e32 v31, v31, v95
	v_sub_f16_e32 v40, v98, v96
	v_add_f16_e32 v36, v15, v13
	v_sub_f16_e32 v13, v15, v13
	v_fmamk_f16 v15, v29, 0xbaee, v93
	v_fmac_f16_e32 v93, 0x3aee, v29
	v_fmamk_f16 v29, v30, 0xbaee, v100
	v_fmac_f16_e32 v100, 0x3aee, v30
	;; [unrolled: 2-line block ×4, first 2 shown]
	v_add_f16_e32 v19, v27, v32
	v_sub_f16_e32 v27, v27, v32
	v_add_f16_e32 v32, v18, v31
	v_mul_f16_e32 v38, 0xbaee, v33
	v_mul_f16_e32 v33, 0.5, v33
	v_sub_f16_e32 v18, v18, v31
	v_mul_f16_e32 v31, 0xbaee, v26
	v_mul_f16_e32 v26, -0.5, v26
	v_mul_f16_e32 v71, 0xbaee, v17
	v_mul_f16_e32 v17, 0.5, v17
	v_fma_f16 v34, 0x3aee, v40, v131
	v_fmac_f16_e64 v131, 0xbaee, v40
	v_mul_f16_e32 v40, 0xbaee, v114
	v_mul_f16_e32 v74, -0.5, v114
	v_fmac_f16_e32 v38, 0.5, v16
	v_fmac_f16_e32 v33, 0x3aee, v16
	v_fmac_f16_e32 v31, -0.5, v103
	v_fmac_f16_e32 v26, 0x3aee, v103
	v_fmac_f16_e32 v71, 0.5, v29
	v_fmac_f16_e32 v17, 0x3aee, v29
	v_fmac_f16_e32 v40, -0.5, v100
	v_fmac_f16_e32 v74, 0x3aee, v100
	v_pack_b32_f16 v16, v19, v35
	v_pack_b32_f16 v19, v32, v36
	v_add_f16_e32 v29, v30, v38
	v_add_f16_e32 v32, v14, v31
	v_sub_f16_e32 v14, v14, v31
	v_add_f16_e32 v31, v28, v33
	v_sub_f16_e32 v28, v28, v33
	v_add_f16_e64 v33, v130, v26
	v_sub_f16_e32 v30, v30, v38
	v_sub_f16_e64 v26, v130, v26
	v_add_f16_e32 v35, v15, v71
	v_add_f16_e32 v36, v34, v17
	v_pack_b32_f16 v12, v27, v12
	v_pack_b32_f16 v13, v18, v13
	v_add_f16_e32 v18, v93, v40
	v_sub_f16_e32 v27, v93, v40
	v_sub_f16_e32 v15, v15, v71
	v_sub_f16_e32 v17, v34, v17
	v_add_f16_e64 v34, v131, v74
	v_sub_f16_e64 v38, v131, v74
	v_pack_b32_f16 v29, v29, v31
	v_pack_b32_f16 v31, v32, v33
	;; [unrolled: 1-line block ×8, first 2 shown]
	ds_store_2addr_b32 v78, v16, v29 offset1:6
	ds_store_2addr_b32 v78, v31, v12 offset0:12 offset1:18
	ds_store_2addr_b32 v78, v28, v14 offset0:24 offset1:30
	ds_store_2addr_b32 v79, v19, v26 offset1:6
	ds_store_2addr_b32 v79, v18, v13 offset0:12 offset1:18
	ds_store_2addr_b32 v79, v15, v17 offset0:24 offset1:30
	global_wb scope:SCOPE_SE
	s_wait_dscnt 0x0
	s_barrier_signal -1
	s_barrier_wait -1
	global_inv scope:SCOPE_SE
	ds_load_2addr_b32 v[12:13], v69 offset0:88 offset1:196
	ds_load_2addr_b32 v[14:15], v68 offset0:48 offset1:156
	;; [unrolled: 1-line block ×4, first 2 shown]
	v_mov_b32_e32 v38, v24
	v_mov_b32_e32 v40, v25
	ds_load_2addr_b32 v[24:25], v67 offset0:56 offset1:164
	ds_load_2addr_b32 v[30:31], v54 offset1:108
	global_wb scope:SCOPE_SE
	s_wait_dscnt 0x0
	v_lshlrev_b64_e32 v[26:27], 2, v[37:38]
	v_lshlrev_b64_e32 v[28:29], 2, v[39:40]
	s_barrier_signal -1
	s_barrier_wait -1
	global_inv scope:SCOPE_SE
	v_lshrrev_b32_e32 v32, 16, v12
	v_lshrrev_b32_e32 v33, 16, v14
	;; [unrolled: 1-line block ×3, first 2 shown]
	v_mul_f16_e32 v35, v112, v12
	v_lshrrev_b32_e32 v36, 16, v18
	v_mul_f16_e32 v37, v109, v14
	v_mul_f16_e32 v38, v110, v16
	;; [unrolled: 1-line block ×3, first 2 shown]
	v_lshrrev_b32_e32 v40, 16, v13
	v_lshrrev_b32_e32 v71, 16, v24
	v_mul_f16_e32 v77, v111, v24
	v_mul_f16_e32 v78, v108, v13
	v_lshrrev_b32_e32 v79, 16, v17
	v_lshrrev_b32_e32 v74, 16, v15
	v_mul_f16_e32 v92, v107, v15
	v_lshrrev_b32_e32 v93, 16, v19
	v_mul_f16_e32 v94, v104, v17
	v_mul_f16_e32 v95, v105, v19
	v_lshrrev_b32_e32 v96, 16, v25
	v_mul_f16_e32 v97, v106, v25
	v_mul_f16_e32 v100, v112, v32
	v_fma_f16 v32, v4, v32, -v35
	v_mul_f16_e32 v35, v109, v33
	v_fma_f16 v33, v5, v33, -v37
	;; [unrolled: 2-line block ×4, first 2 shown]
	v_mul_f16_e32 v39, v108, v40
	v_mul_f16_e32 v101, v111, v71
	v_fma_f16 v71, v72, v71, -v77
	v_fma_f16 v40, v0, v40, -v78
	v_mul_f16_e32 v78, v104, v79
	v_lshrrev_b32_e32 v98, 16, v30
	v_mul_f16_e32 v77, v107, v74
	v_fma_f16 v74, v1, v74, -v92
	v_fma_f16 v79, v2, v79, -v94
	v_mul_f16_e32 v92, v105, v93
	v_fma_f16 v93, v3, v93, -v95
	v_mul_f16_e32 v94, v106, v96
	v_fma_f16 v95, v73, v96, -v97
	v_lshrrev_b32_e32 v99, 16, v31
	v_fmac_f16_e32 v100, v4, v12
	v_fmac_f16_e32 v35, v5, v14
	v_fmac_f16_e32 v37, v6, v16
	v_fmac_f16_e32 v38, v7, v18
	v_fmac_f16_e32 v101, v72, v24
	v_fmac_f16_e32 v78, v2, v17
	v_add_f16_e32 v2, v33, v36
	v_add_f16_e32 v5, v34, v71
	v_fmac_f16_e32 v77, v1, v15
	v_fmac_f16_e32 v92, v3, v19
	;; [unrolled: 1-line block ×3, first 2 shown]
	v_add_f16_e32 v1, v98, v33
	v_add_f16_e32 v4, v32, v34
	;; [unrolled: 1-line block ×3, first 2 shown]
	v_fmac_f16_e32 v39, v0, v13
	v_add_f16_e32 v7, v99, v74
	v_add_f16_e32 v12, v74, v93
	;; [unrolled: 1-line block ×4, first 2 shown]
	v_fmac_f16_e32 v98, -0.5, v2
	v_sub_f16_e32 v2, v35, v38
	v_add_f16_e32 v18, v100, v37
	v_add_f16_e32 v19, v37, v101
	v_fmac_f16_e32 v32, -0.5, v5
	v_sub_f16_e32 v5, v37, v101
	v_sub_f16_e32 v3, v34, v71
	v_add_f16_e32 v16, v30, v35
	v_add_f16_e32 v1, v1, v36
	;; [unrolled: 1-line block ×6, first 2 shown]
	v_fmac_f16_e32 v40, -0.5, v15
	v_sub_f16_e32 v15, v78, v94
	v_sub_f16_e32 v0, v33, v36
	v_add_f16_e32 v7, v7, v93
	v_fmac_f16_e32 v99, -0.5, v12
	v_sub_f16_e32 v12, v77, v92
	v_add_f16_e32 v33, v39, v78
	v_add_f16_e32 v14, v14, v95
	v_fma_f16 v17, -0.5, v17, v30
	v_fmamk_f16 v30, v2, 0x3aee, v98
	v_fmac_f16_e32 v98, 0xbaee, v2
	v_add_f16_e32 v2, v18, v101
	v_fmac_f16_e32 v100, -0.5, v19
	v_fmamk_f16 v18, v5, 0x3aee, v32
	v_fmac_f16_e32 v32, 0xbaee, v5
	v_sub_f16_e32 v6, v74, v93
	v_sub_f16_e32 v13, v79, v95
	v_add_f16_e32 v16, v16, v38
	v_add_f16_e32 v5, v1, v4
	v_sub_f16_e32 v1, v1, v4
	v_add_f16_e32 v4, v24, v92
	v_fmac_f16_e32 v31, -0.5, v25
	v_fmac_f16_e32 v39, -0.5, v34
	v_fmamk_f16 v24, v15, 0x3aee, v40
	v_fmac_f16_e32 v40, 0xbaee, v15
	v_fmamk_f16 v19, v12, 0x3aee, v99
	v_fmac_f16_e32 v99, 0xbaee, v12
	v_add_f16_e32 v12, v33, v94
	v_add_f16_e32 v15, v7, v14
	v_sub_f16_e32 v7, v7, v14
	v_fmamk_f16 v14, v0, 0xbaee, v17
	v_fmac_f16_e32 v17, 0x3aee, v0
	v_fmamk_f16 v0, v3, 0xbaee, v100
	v_mul_f16_e32 v25, 0xbaee, v18
	v_mul_f16_e32 v18, 0.5, v18
	v_fmac_f16_e32 v100, 0x3aee, v3
	v_mul_f16_e32 v33, 0xbaee, v32
	v_mul_f16_e32 v32, -0.5, v32
	v_add_f16_e32 v3, v16, v2
	v_sub_f16_e32 v2, v16, v2
	v_fmamk_f16 v16, v6, 0xbaee, v31
	v_fmac_f16_e32 v31, 0x3aee, v6
	v_fmamk_f16 v6, v13, 0xbaee, v39
	v_mul_f16_e32 v34, 0xbaee, v24
	v_mul_f16_e32 v24, 0.5, v24
	v_fmac_f16_e32 v39, 0x3aee, v13
	v_mul_f16_e32 v35, 0xbaee, v40
	v_mul_f16_e32 v36, -0.5, v40
	v_add_f16_e32 v13, v4, v12
	v_sub_f16_e32 v4, v4, v12
	v_fmac_f16_e32 v25, 0.5, v0
	v_fmac_f16_e32 v18, 0x3aee, v0
	v_fmac_f16_e32 v33, -0.5, v100
	v_fmac_f16_e32 v32, 0x3aee, v100
	v_fmac_f16_e32 v34, 0.5, v6
	v_fmac_f16_e32 v24, 0x3aee, v6
	v_fmac_f16_e32 v35, -0.5, v39
	v_fmac_f16_e32 v36, 0x3aee, v39
	v_pack_b32_f16 v0, v3, v5
	v_pack_b32_f16 v3, v4, v7
	v_add_f16_e32 v4, v14, v25
	v_add_f16_e32 v6, v30, v18
	;; [unrolled: 1-line block ×4, first 2 shown]
	v_pack_b32_f16 v1, v2, v1
	v_pack_b32_f16 v2, v13, v15
	v_sub_f16_e32 v12, v14, v25
	v_sub_f16_e32 v13, v17, v33
	;; [unrolled: 1-line block ×4, first 2 shown]
	v_add_f16_e32 v17, v16, v34
	v_add_f16_e32 v25, v19, v24
	;; [unrolled: 1-line block ×4, first 2 shown]
	v_sub_f16_e32 v16, v16, v34
	v_sub_f16_e32 v31, v31, v35
	;; [unrolled: 1-line block ×4, first 2 shown]
	v_pack_b32_f16 v4, v4, v6
	v_pack_b32_f16 v5, v5, v7
	;; [unrolled: 1-line block ×8, first 2 shown]
	ds_store_2addr_b32 v91, v0, v4 offset1:36
	ds_store_2addr_b32 v91, v5, v1 offset0:72 offset1:108
	ds_store_2addr_b32 v91, v6, v7 offset0:144 offset1:180
	ds_store_2addr_b32 v90, v2, v12 offset1:36
	ds_store_2addr_b32 v90, v13, v3 offset0:72 offset1:108
	ds_store_2addr_b32 v90, v14, v15 offset0:144 offset1:180
	global_wb scope:SCOPE_SE
	s_wait_dscnt 0x0
	s_barrier_signal -1
	s_barrier_wait -1
	global_inv scope:SCOPE_SE
	ds_load_2addr_b32 v[4:5], v54 offset1:108
	ds_load_2addr_b32 v[6:7], v69 offset0:88 offset1:196
	ds_load_2addr_b32 v[12:13], v68 offset0:48 offset1:156
	ds_load_2addr_b32 v[14:15], v70 offset0:136 offset1:244
	ds_load_2addr_b32 v[16:17], v66 offset0:96 offset1:204
	ds_load_2addr_b32 v[18:19], v67 offset0:56 offset1:164
	v_add_co_u32 v0, vcc_lo, s0, v26
	s_wait_alu 0xfffd
	v_add_co_ci_u32_e32 v1, vcc_lo, s1, v27, vcc_lo
	s_mul_i32 s0, s5, 0xfffff0d0
	s_delay_alu instid0(VALU_DEP_2) | instskip(SKIP_1) | instid1(VALU_DEP_2)
	v_add_co_u32 v0, vcc_lo, v0, v28
	s_wait_alu 0xfffd
	v_add_co_ci_u32_e32 v1, vcc_lo, v1, v29, vcc_lo
	s_wait_alu 0xfffe
	s_sub_co_i32 s0, s0, s4
	v_add_co_u32 v2, vcc_lo, v0, s36
	s_wait_alu 0xfffd
	v_add_co_ci_u32_e32 v3, vcc_lo, s37, v1, vcc_lo
	s_wait_dscnt 0x5
	v_lshrrev_b32_e32 v24, 16, v4
	s_wait_dscnt 0x4
	v_lshrrev_b32_e32 v25, 16, v6
	;; [unrolled: 2-line block ×6, first 2 shown]
	v_mul_f16_e32 v36, v85, v6
	v_mul_f16_e32 v37, v86, v12
	;; [unrolled: 1-line block ×5, first 2 shown]
	v_lshrrev_b32_e32 v31, 16, v7
	v_lshrrev_b32_e32 v32, 16, v13
	;; [unrolled: 1-line block ×5, first 2 shown]
	v_mul_f16_e32 v71, v80, v7
	v_mul_f16_e32 v72, v81, v13
	;; [unrolled: 1-line block ×6, first 2 shown]
	v_fma_f16 v25, v8, v25, -v36
	v_mul_f16_e32 v36, v86, v26
	v_fma_f16 v26, v9, v26, -v37
	v_mul_f16_e32 v37, v87, v27
	;; [unrolled: 2-line block ×9, first 2 shown]
	v_fma_f16 v35, v75, v35, -v77
	v_lshrrev_b32_e32 v30, 16, v5
	v_fmac_f16_e32 v78, v8, v6
	v_fmac_f16_e32 v36, v9, v12
	;; [unrolled: 1-line block ×5, first 2 shown]
	v_add_f16_e32 v8, v26, v28
	v_add_f16_e32 v11, v27, v29
	v_fmac_f16_e32 v40, v20, v7
	v_fmac_f16_e32 v71, v21, v13
	;; [unrolled: 1-line block ×5, first 2 shown]
	v_add_f16_e32 v7, v24, v26
	v_add_f16_e32 v10, v25, v27
	;; [unrolled: 1-line block ×7, first 2 shown]
	v_fmac_f16_e32 v24, -0.5, v8
	v_sub_f16_e32 v8, v36, v38
	v_add_f16_e32 v20, v78, v37
	v_add_f16_e32 v21, v37, v39
	v_fmac_f16_e32 v25, -0.5, v11
	v_sub_f16_e32 v11, v37, v39
	v_sub_f16_e32 v9, v27, v29
	v_add_f16_e32 v18, v4, v36
	v_add_f16_e32 v7, v7, v28
	;; [unrolled: 1-line block ×6, first 2 shown]
	v_fmac_f16_e32 v31, -0.5, v17
	v_sub_f16_e32 v17, v72, v74
	v_sub_f16_e32 v6, v26, v28
	v_add_f16_e32 v13, v13, v34
	v_fmac_f16_e32 v30, -0.5, v14
	v_sub_f16_e32 v14, v71, v73
	v_add_f16_e32 v26, v40, v72
	v_add_f16_e32 v16, v16, v35
	v_fma_f16 v4, -0.5, v19, v4
	v_fmamk_f16 v19, v8, 0x3aee, v24
	v_fmac_f16_e32 v24, 0xbaee, v8
	v_add_f16_e32 v8, v20, v39
	v_fmac_f16_e32 v78, -0.5, v21
	v_fmamk_f16 v20, v11, 0x3aee, v25
	v_fmac_f16_e32 v25, 0xbaee, v11
	v_sub_f16_e32 v12, v32, v34
	v_sub_f16_e32 v15, v33, v35
	v_add_f16_e32 v18, v18, v38
	v_add_f16_e32 v11, v7, v10
	v_sub_f16_e32 v7, v7, v10
	v_add_f16_e32 v10, v22, v73
	v_fmac_f16_e32 v5, -0.5, v23
	v_fmac_f16_e32 v40, -0.5, v27
	v_fmamk_f16 v22, v17, 0x3aee, v31
	v_fmac_f16_e32 v31, 0xbaee, v17
	v_fmamk_f16 v21, v14, 0x3aee, v30
	v_fmac_f16_e32 v30, 0xbaee, v14
	v_add_f16_e32 v14, v26, v74
	v_add_f16_e32 v17, v13, v16
	v_sub_f16_e32 v13, v13, v16
	v_fmamk_f16 v16, v6, 0xbaee, v4
	v_fmac_f16_e32 v4, 0x3aee, v6
	v_fmamk_f16 v6, v9, 0xbaee, v78
	v_mul_f16_e32 v23, 0xbaee, v20
	v_mul_f16_e32 v20, 0.5, v20
	v_fmac_f16_e32 v78, 0x3aee, v9
	v_mul_f16_e32 v26, 0xbaee, v25
	v_mul_f16_e32 v25, -0.5, v25
	v_add_f16_e32 v9, v18, v8
	v_sub_f16_e32 v8, v18, v8
	v_fmamk_f16 v18, v12, 0xbaee, v5
	v_fmac_f16_e32 v5, 0x3aee, v12
	v_fmamk_f16 v12, v15, 0xbaee, v40
	v_fmac_f16_e32 v40, 0x3aee, v15
	v_mul_f16_e32 v27, 0xbaee, v22
	v_mul_f16_e32 v28, 0xbaee, v31
	v_mul_f16_e32 v22, 0.5, v22
	v_mul_f16_e32 v29, -0.5, v31
	v_add_f16_e32 v15, v10, v14
	v_sub_f16_e32 v10, v10, v14
	v_fmac_f16_e32 v23, 0.5, v6
	v_fmac_f16_e32 v20, 0x3aee, v6
	v_fmac_f16_e32 v26, -0.5, v78
	v_fmac_f16_e32 v25, 0x3aee, v78
	v_fmac_f16_e32 v27, 0.5, v12
	v_fmac_f16_e32 v28, -0.5, v40
	v_fmac_f16_e32 v22, 0x3aee, v12
	v_fmac_f16_e32 v29, 0x3aee, v40
	v_pack_b32_f16 v6, v9, v11
	v_pack_b32_f16 v9, v10, v13
	v_add_f16_e32 v10, v16, v23
	v_add_f16_e32 v12, v19, v20
	;; [unrolled: 1-line block ×4, first 2 shown]
	v_pack_b32_f16 v7, v8, v7
	v_pack_b32_f16 v8, v15, v17
	v_sub_f16_e32 v14, v16, v23
	v_sub_f16_e32 v15, v19, v20
	;; [unrolled: 1-line block ×4, first 2 shown]
	v_add_f16_e32 v17, v18, v27
	v_add_f16_e32 v19, v5, v28
	;; [unrolled: 1-line block ×4, first 2 shown]
	v_sub_f16_e32 v18, v18, v27
	v_sub_f16_e32 v21, v21, v22
	;; [unrolled: 1-line block ×4, first 2 shown]
	v_pack_b32_f16 v10, v10, v12
	v_pack_b32_f16 v11, v11, v13
	v_pack_b32_f16 v12, v14, v15
	v_pack_b32_f16 v4, v4, v16
	v_pack_b32_f16 v14, v19, v23
	v_pack_b32_f16 v15, v18, v21
	v_pack_b32_f16 v13, v17, v20
	v_pack_b32_f16 v5, v5, v22
	ds_store_b32 v54, v10 offset:864
	ds_store_b32 v54, v11 offset:1728
	ds_store_b32 v54, v7 offset:2592
	ds_store_b32 v54, v12 offset:3456
	ds_store_b32 v54, v4 offset:4320
	ds_store_2addr_b32 v54, v6, v8 offset1:108
	ds_store_b32 v54, v13 offset:1296
	ds_store_b32 v54, v14 offset:2160
	;; [unrolled: 1-line block ×5, first 2 shown]
	global_wb scope:SCOPE_SE
	s_wait_dscnt 0x0
	s_barrier_signal -1
	s_barrier_wait -1
	global_inv scope:SCOPE_SE
	ds_load_2addr_b32 v[6:7], v54 offset1:108
	ds_load_2addr_b32 v[14:15], v69 offset0:88 offset1:196
	ds_load_2addr_b32 v[16:17], v68 offset0:48 offset1:156
	;; [unrolled: 1-line block ×5, first 2 shown]
	v_add_co_u32 v8, vcc_lo, v2, s36
	s_wait_alu 0xfffd
	v_add_co_ci_u32_e32 v9, vcc_lo, s37, v3, vcc_lo
	s_delay_alu instid0(VALU_DEP_2) | instskip(SKIP_1) | instid1(VALU_DEP_2)
	v_add_co_u32 v10, vcc_lo, v8, s36
	s_wait_alu 0xfffd
	v_add_co_ci_u32_e32 v11, vcc_lo, s37, v9, vcc_lo
	s_delay_alu instid0(VALU_DEP_2) | instskip(SKIP_1) | instid1(VALU_DEP_2)
	v_add_co_u32 v12, vcc_lo, v10, s36
	s_wait_alu 0xfffd
	v_add_co_ci_u32_e32 v13, vcc_lo, s37, v11, vcc_lo
	s_wait_dscnt 0x5
	v_lshrrev_b32_e32 v20, 16, v6
	v_mul_f16_e32 v23, v65, v6
	s_wait_dscnt 0x4
	v_lshrrev_b32_e32 v24, 16, v14
	v_mul_f16_e32 v25, v64, v14
	;; [unrolled: 3-line block ×6, first 2 shown]
	v_lshrrev_b32_e32 v34, 16, v7
	v_mul_f16_e32 v35, v59, v7
	v_lshrrev_b32_e32 v36, 16, v15
	v_mul_f16_e32 v37, v57, v15
	;; [unrolled: 2-line block ×4, first 2 shown]
	v_fma_f16 v20, v48, v20, -v23
	v_mul_f16_e32 v54, v56, v19
	v_mul_f16_e32 v64, v64, v24
	v_fma_f16 v23, v53, v24, -v25
	v_mul_f16_e32 v25, v63, v26
	v_fma_f16 v24, v51, v26, -v27
	;; [unrolled: 2-line block ×8, first 2 shown]
	v_mul_f16_e32 v38, v56, v40
	v_fmac_f16_e32 v65, v48, v6
	v_cvt_f32_f16_e32 v6, v20
	v_fma_f16 v39, v44, v40, -v54
	v_fmac_f16_e32 v64, v53, v14
	v_cvt_f32_f16_e32 v14, v23
	v_fmac_f16_e32 v25, v51, v16
	v_cvt_f32_f16_e32 v16, v24
	;; [unrolled: 2-line block ×4, first 2 shown]
	v_fmac_f16_e32 v32, v49, v7
	v_cvt_f64_f32_e32 v[6:7], v6
	v_cvt_f32_f16_e32 v29, v35
	v_fmac_f16_e32 v36, v46, v17
	v_cvt_f32_f16_e32 v31, v37
	v_fmac_f16_e32 v38, v44, v19
	v_fmac_f16_e32 v28, v45, v21
	v_cvt_f32_f16_e32 v21, v33
	v_fmac_f16_e32 v34, v47, v15
	v_cvt_f32_f16_e32 v33, v39
	v_cvt_f64_f32_e32 v[14:15], v14
	v_cvt_f64_f32_e32 v[16:17], v16
	;; [unrolled: 1-line block ×3, first 2 shown]
	v_cvt_f32_f16_e32 v39, v25
	v_cvt_f32_f16_e32 v44, v26
	v_cvt_f64_f32_e32 v[25:26], v4
	v_cvt_f32_f16_e32 v4, v30
	v_cvt_f32_f16_e32 v50, v32
	v_cvt_f64_f32_e32 v[29:30], v29
	v_cvt_f32_f16_e32 v54, v36
	v_cvt_f64_f32_e32 v[31:32], v31
	v_cvt_f32_f16_e32 v58, v38
	v_cvt_f32_f16_e32 v18, v27
	v_lshrrev_b32_e32 v72, 16, v22
	v_cvt_f64_f32_e32 v[56:57], v54
	v_cvt_f32_f16_e32 v46, v28
	v_cvt_f64_f32_e32 v[58:59], v58
	v_cvt_f64_f32_e32 v[18:19], v18
	v_mul_f16_e32 v40, v55, v72
	v_cvt_f64_f32_e32 v[27:28], v21
	v_cvt_f32_f16_e32 v20, v65
	v_cvt_f32_f16_e32 v37, v64
	v_cvt_f64_f32_e32 v[48:49], v4
	v_fmac_f16_e32 v40, v43, v22
	v_cvt_f64_f32_e32 v[50:51], v50
	v_mul_f16_e32 v4, v55, v22
	v_cvt_f64_f32_e32 v[35:36], v20
	v_cvt_f64_f32_e32 v[46:47], v46
	v_cvt_f32_f16_e32 v60, v40
	v_mul_f64_e32 v[62:63], s[38:39], v[6:7]
	v_cvt_f64_f32_e32 v[37:38], v37
	v_cvt_f64_f32_e32 v[39:40], v39
	v_cvt_f32_f16_e32 v21, v34
	v_cvt_f64_f32_e32 v[60:61], v60
	v_cvt_f64_f32_e32 v[44:45], v44
	v_add_co_u32 v20, vcc_lo, v12, s36
	s_delay_alu instid0(VALU_DEP_4)
	v_cvt_f64_f32_e32 v[52:53], v21
	v_mul_f64_e32 v[64:65], s[38:39], v[14:15]
	v_mul_f64_e32 v[66:67], s[38:39], v[16:17]
	;; [unrolled: 1-line block ×3, first 2 shown]
	s_wait_alu 0xfffd
	v_add_co_ci_u32_e32 v21, vcc_lo, s37, v13, vcc_lo
	v_mul_f64_e32 v[70:71], s[38:39], v[25:26]
	v_fma_f16 v4, v43, v72, -v4
	v_cvt_f64_f32_e32 v[33:34], v33
	v_mul_f64_e32 v[74:75], s[38:39], v[29:30]
	v_mad_co_u64_u32 v[14:15], null, 0xfffff0d0, s4, v[20:21]
	v_mul_f64_e32 v[24:25], s[38:39], v[31:32]
	v_mul_f64_e32 v[56:57], s[38:39], v[56:57]
	;; [unrolled: 1-line block ×4, first 2 shown]
	s_wait_alu 0xfffe
	v_add_nc_u32_e32 v15, s0, v15
	v_mul_f64_e32 v[72:73], s[38:39], v[27:28]
	v_add_co_u32 v6, vcc_lo, v14, s36
	v_mul_f64_e32 v[78:79], s[38:39], v[48:49]
	s_wait_alu 0xfffd
	v_add_co_ci_u32_e32 v7, vcc_lo, s37, v15, vcc_lo
	v_mul_f64_e32 v[80:81], s[38:39], v[50:51]
	v_mul_f64_e32 v[35:36], s[38:39], v[35:36]
	;; [unrolled: 1-line block ×3, first 2 shown]
	v_and_or_b32 v58, 0x1ff, v63, v62
	v_bfe_u32 v26, v63, 20, 11
	v_mul_f64_e32 v[37:38], s[38:39], v[37:38]
	v_mul_f64_e32 v[39:40], s[38:39], v[39:40]
	;; [unrolled: 1-line block ×3, first 2 shown]
	v_cmp_ne_u32_e32 vcc_lo, 0, v58
	v_sub_nc_u32_e32 v85, 0x3f1, v26
	v_add_nc_u32_e32 v46, 0xfffffc10, v26
	v_mul_f64_e32 v[43:44], s[38:39], v[44:45]
	v_and_or_b32 v60, 0x1ff, v65, v64
	v_and_or_b32 v61, 0x1ff, v67, v66
	;; [unrolled: 1-line block ×3, first 2 shown]
	v_lshrrev_b32_e32 v66, 8, v55
	v_bfe_u32 v50, v55, 20, 11
	v_lshrrev_b32_e32 v31, 16, v55
	v_and_or_b32 v55, 0x1ff, v71, v70
	v_mul_f64_e32 v[82:83], s[38:39], v[52:53]
	v_and_or_b32 v70, 0x1ff, v75, v74
	v_mul_f64_e32 v[18:19], s[38:39], v[33:34]
	v_lshrrev_b32_e32 v62, 8, v67
	v_bfe_u32 v74, v25, 20, 11
	v_bfe_u32 v48, v67, 20, 11
	v_lshrrev_b32_e32 v29, 16, v67
	v_and_or_b32 v106, 0x1ff, v57, v56
	v_lshrrev_b32_e32 v107, 8, v57
	v_sub_nc_u32_e32 v56, 0x3f1, v74
	v_bfe_u32 v108, v57, 20, 11
	v_add_nc_u32_e32 v26, 0xfffffc10, v74
	v_and_or_b32 v74, 0x1ff, v23, v22
	v_lshrrev_b32_e32 v22, 16, v57
	s_wait_alu 0xfffd
	v_cndmask_b32_e64 v57, 0, 1, vcc_lo
	v_cmp_ne_u32_e32 vcc_lo, 0, v60
	v_and_or_b32 v64, 0x1ff, v69, v68
	v_and_or_b32 v68, 0x1ff, v73, v72
	;; [unrolled: 1-line block ×3, first 2 shown]
	v_lshrrev_b32_e32 v67, 8, v71
	s_wait_alu 0xfffd
	v_cndmask_b32_e64 v110, 0, 1, vcc_lo
	v_cmp_ne_u32_e32 vcc_lo, 0, v61
	v_bfe_u32 v51, v71, 20, 11
	v_lshrrev_b32_e32 v32, 16, v71
	v_lshrrev_b32_e32 v71, 8, v75
	v_bfe_u32 v53, v75, 20, 11
	s_wait_alu 0xfffd
	v_cndmask_b32_e64 v58, 0, 1, vcc_lo
	v_cmp_ne_u32_e32 vcc_lo, 0, v64
	v_lshrrev_b32_e32 v34, 16, v75
	v_and_or_b32 v75, 0x1ff, v36, v35
	v_lshrrev_b32_e32 v59, 8, v63
	v_lshrrev_b32_e32 v27, 16, v63
	s_wait_alu 0xfffd
	v_cndmask_b32_e64 v60, 0, 1, vcc_lo
	v_cmp_ne_u32_e32 vcc_lo, 0, v54
	v_lshrrev_b32_e32 v63, 8, v65
	v_bfe_u32 v45, v65, 20, 11
	v_lshrrev_b32_e32 v28, 16, v65
	v_lshrrev_b32_e32 v65, 8, v69
	s_wait_alu 0xfffd
	v_cndmask_b32_e64 v64, 0, 1, vcc_lo
	v_cmp_ne_u32_e32 vcc_lo, 0, v55
	v_bfe_u32 v49, v69, 20, 11
	v_lshrrev_b32_e32 v30, 16, v69
	v_lshrrev_b32_e32 v69, 8, v73
	v_and_or_b32 v86, 0x1ff, v38, v37
	s_wait_alu 0xfffd
	v_cndmask_b32_e64 v111, 0, 1, vcc_lo
	v_cmp_ne_u32_e32 vcc_lo, 0, v68
	v_and_or_b32 v90, 0x1ff, v40, v39
	v_and_or_b32 v94, 0x1ff, v44, v43
	v_bfe_u32 v52, v73, 20, 11
	v_lshrrev_b32_e32 v33, 16, v73
	s_wait_alu 0xfffd
	v_cndmask_b32_e64 v68, 0, 1, vcc_lo
	v_cmp_ne_u32_e32 vcc_lo, 0, v70
	v_lshrrev_b32_e32 v73, 8, v25
	v_and_or_b32 v76, 0x1ff, v77, v76
	v_and_or_b32 v78, 0x1ff, v79, v78
	;; [unrolled: 1-line block ×3, first 2 shown]
	s_wait_alu 0xfffd
	v_cndmask_b32_e64 v70, 0, 1, vcc_lo
	v_cmp_ne_u32_e32 vcc_lo, 0, v72
	v_and_or_b32 v80, 0x1ff, v81, v80
	v_and_or_b32 v82, 0x1ff, v83, v82
	v_bfe_u32 v96, v44, 20, 11
	v_and_or_b32 v70, 0xffe, v71, v70
	s_wait_alu 0xfffd
	v_cndmask_b32_e64 v72, 0, 1, vcc_lo
	v_cmp_ne_u32_e32 vcc_lo, 0, v75
	v_lshrrev_b32_e32 v103, 8, v83
	v_sub_nc_u32_e32 v105, 0x3f1, v53
	v_and_or_b32 v119, 0xffe, v59, v57
	v_and_or_b32 v72, 0xffe, v73, v72
	s_wait_alu 0xfffd
	v_cndmask_b32_e64 v69, 0, 1, vcc_lo
	v_cmp_ne_u32_e32 vcc_lo, 0, v86
	v_lshrrev_b32_e32 v84, 8, v36
	v_med3_i32 v105, v105, 0, 13
	v_sub_nc_u32_e32 v116, 0x3f1, v96
	v_and_or_b32 v63, 0xffe, v63, v110
	s_wait_alu 0xfffd
	v_cndmask_b32_e64 v71, 0, 1, vcc_lo
	v_cmp_ne_u32_e32 vcc_lo, 0, v90
	v_add_nc_u32_e32 v47, 0xfffffc10, v45
	v_bfe_u32 v98, v77, 20, 11
	v_and_or_b32 v121, 0xffe, v62, v58
	v_and_or_b32 v69, 0xffe, v84, v69
	s_wait_alu 0xfffd
	v_cndmask_b32_e64 v75, 0, 1, vcc_lo
	v_cmp_ne_u32_e32 vcc_lo, 0, v94
	v_med3_i32 v84, v116, 0, 13
	v_sub_nc_u32_e32 v117, 0x3f1, v98
	v_and_or_b32 v65, 0xffe, v65, v60
	v_sub_nc_u32_e32 v123, 0x3f1, v108
	s_wait_alu 0xfffd
	v_cndmask_b32_e64 v73, 0, 1, vcc_lo
	v_cmp_ne_u32_e32 vcc_lo, 0, v76
	v_add_nc_u32_e32 v54, 0xfffffc10, v108
	v_or_b32_e32 v108, 0x1000, v63
	v_and_or_b32 v24, 0x1ff, v19, v18
	v_bfe_u32 v18, v36, 20, 11
	s_wait_alu 0xfffd
	v_cndmask_b32_e64 v76, 0, 1, vcc_lo
	v_cmp_ne_u32_e32 vcc_lo, 0, v78
	v_lshrrev_b32_e32 v35, 16, v36
	v_lshrrev_b32_e32 v87, 8, v38
	v_bfe_u32 v88, v38, 20, 11
	v_lshrrev_b32_e32 v36, 16, v38
	s_wait_alu 0xfffd
	v_cndmask_b32_e64 v78, 0, 1, vcc_lo
	v_cmp_ne_u32_e32 vcc_lo, 0, v80
	v_lshrrev_b32_e32 v95, 8, v44
	v_lshrrev_b32_e32 v38, 16, v44
	v_sub_nc_u32_e32 v44, 0x3f1, v49
	v_lshrrev_b32_e32 v99, 8, v79
	s_wait_alu 0xfffd
	v_cndmask_b32_e64 v80, 0, 1, vcc_lo
	v_cmp_ne_u32_e32 vcc_lo, 0, v82
	v_lshrrev_b32_e32 v101, 8, v81
	v_bfe_u32 v102, v81, 20, 11
	v_lshrrev_b32_e32 v43, 16, v81
	v_sub_nc_u32_e32 v81, 0x3f1, v52
	s_wait_alu 0xfffd
	v_cndmask_b32_e64 v82, 0, 1, vcc_lo
	v_cmp_ne_u32_e32 vcc_lo, 0, v106
	v_bfe_u32 v104, v83, 20, 11
	v_and_or_b32 v67, 0xffe, v67, v111
	v_med3_i32 v94, v117, 0, 13
	v_and_or_b32 v82, 0xffe, v103, v82
	s_wait_alu 0xfffd
	v_cndmask_b32_e64 v86, 0, 1, vcc_lo
	v_cmp_ne_u32_e32 vcc_lo, 0, v74
	v_or_b32_e32 v103, 0x1000, v70
	v_sub_nc_u32_e32 v89, 0x3f1, v45
	v_lshrrev_b32_e32 v91, 8, v40
	v_and_or_b32 v86, 0xffe, v107, v86
	s_wait_alu 0xfffd
	v_cndmask_b32_e64 v74, 0, 1, vcc_lo
	v_cmp_ne_u32_e32 vcc_lo, 0, v119
	v_lshrrev_b32_e32 v124, v105, v103
	v_lshl_or_b32 v107, v47, 12, v63
	v_bfe_u32 v92, v40, 20, 11
	v_lshrrev_b32_e32 v37, 16, v40
	s_wait_alu 0xfffd
	v_cndmask_b32_e64 v116, 0, 1, vcc_lo
	v_cmp_ne_u32_e32 vcc_lo, 0, v63
	v_lshlrev_b32_e32 v105, v105, v124
	v_bfe_u32 v100, v79, 20, 11
	v_lshrrev_b32_e32 v40, 16, v79
	v_sub_nc_u32_e32 v79, 0x3f1, v51
	s_wait_alu 0xfffd
	v_cndmask_b32_e64 v63, 0, 1, vcc_lo
	v_cmp_ne_u32_e32 vcc_lo, 0, v121
	v_cmp_ne_u32_e64 s3, v105, v103
	v_lshl_or_b32 v103, v54, 12, v86
	v_add_nc_u32_e32 v49, 0xfffffc10, v49
	v_lshrrev_b32_e32 v45, 16, v83
	s_wait_alu 0xfffd
	v_cndmask_b32_e64 v117, 0, 1, vcc_lo
	v_cmp_ne_u32_e32 vcc_lo, 0, v65
	v_lshrrev_b32_e32 v83, 8, v23
	v_med3_i32 v113, v44, 0, 13
	v_sub_nc_u32_e32 v44, 0x3f1, v88
	v_med3_i32 v81, v81, 0, 13
	v_sub_nc_u32_e32 v122, 0x3f1, v104
	v_add_nc_u32_e32 v55, 0xfffffc10, v104
	v_and_or_b32 v64, 0xffe, v66, v64
	v_and_or_b32 v78, 0xffe, v99, v78
	;; [unrolled: 1-line block ×3, first 2 shown]
	v_or_b32_e32 v99, 0x1000, v65
	v_or_b32_e32 v101, 0x1000, v68
	v_lshl_or_b32 v104, v49, 12, v65
	s_wait_alu 0xfffd
	v_cndmask_b32_e64 v65, 0, 1, vcc_lo
	v_cmp_ne_u32_e32 vcc_lo, 0, v67
	v_lshl_or_b32 v116, v116, 9, 0x7c00
	v_add_nc_u32_e32 v51, 0xfffffc10, v51
	v_lshrrev_b32_e32 v97, 8, v77
	v_lshrrev_b32_e32 v39, 16, v77
	v_sub_nc_u32_e32 v77, 0x3f1, v50
	v_add_nc_u32_e32 v50, 0xfffffc10, v50
	v_bfe_u32 v109, v23, 20, 11
	v_med3_i32 v115, v56, 0, 13
	v_add_nc_u32_e32 v59, 0xfffffc10, v96
	v_med3_i32 v90, v44, 0, 13
	v_med3_i32 v96, v123, 0, 13
	v_and_or_b32 v44, 0xffe, v83, v74
	v_or_b32_e32 v74, 0x1000, v67
	v_or_b32_e32 v106, 0x1000, v72
	v_lshl_or_b32 v110, v51, 12, v67
	s_wait_alu 0xfffd
	v_cndmask_b32_e64 v67, 0, 1, vcc_lo
	v_cmp_ne_u32_e32 vcc_lo, 0, v64
	v_lshrrev_b32_e32 v123, v81, v101
	v_sub_nc_u32_e32 v112, 0x3f1, v18
	v_sub_nc_u32_e32 v118, 0x3f1, v100
	v_add_nc_u32_e32 v62, 0xfffffc10, v18
	v_add_nc_u32_e32 v57, 0xfffffc10, v100
	v_sub_nc_u32_e32 v66, 0x3f1, v109
	v_add_nc_u32_e32 v18, 0xfffffc10, v109
	v_or_b32_e32 v100, 0x1000, v64
	v_lshl_or_b32 v109, v50, 12, v64
	s_wait_alu 0xfffd
	v_cndmask_b32_e64 v64, 0, 1, vcc_lo
	v_lshrrev_b32_e32 v125, v115, v106
	v_lshlrev_b32_e32 v81, v81, v123
	v_add_nc_u32_e32 v52, 0xfffffc10, v52
	v_cmp_ne_u32_e32 vcc_lo, 0, v68
	v_lshl_or_b32 v64, v64, 9, 0x7c00
	v_sub_nc_u32_e32 v120, 0x3f1, v102
	v_cmp_ne_u32_e64 s2, v81, v101
	v_lshlrev_b32_e32 v101, v115, v125
	v_lshl_or_b32 v111, v52, 12, v68
	s_wait_alu 0xfffd
	v_cndmask_b32_e64 v68, 0, 1, vcc_lo
	v_cmp_ne_u32_e32 vcc_lo, 0, v70
	v_add_nc_u32_e32 v61, 0xfffffc10, v88
	v_cmp_ne_u32_e64 s4, v101, v106
	v_lshl_or_b32 v106, v117, 9, 0x7c00
	v_add_nc_u32_e32 v53, 0xfffffc10, v53
	v_med3_i32 v88, v112, 0, 13
	v_and_or_b32 v75, 0xffe, v91, v75
	v_med3_i32 v91, v120, 0, 13
	v_lshrrev_b32_e32 v120, v113, v99
	v_lshl_or_b32 v112, v53, 12, v70
	s_wait_alu 0xfffd
	v_cndmask_b32_e64 v70, 0, 1, vcc_lo
	v_sub_nc_u32_e32 v93, 0x3f1, v48
	v_sub_nc_u32_e32 v114, 0x3f1, v92
	v_med3_i32 v77, v77, 0, 13
	v_and_or_b32 v71, 0xffe, v87, v71
	v_cmp_ne_u32_e32 vcc_lo, 0, v72
	v_lshlrev_b32_e32 v113, v113, v120
	v_lshl_or_b32 v70, v70, 9, 0x7c00
	v_add_nc_u32_e32 v48, 0xfffffc10, v48
	v_cmp_ne_u32_e64 s5, 0, v69
	v_add_nc_u32_e32 v60, 0xfffffc10, v92
	v_add_nc_u32_e32 v58, 0xfffffc10, v98
	;; [unrolled: 1-line block ×3, first 2 shown]
	v_med3_i32 v92, v114, 0, 13
	v_or_b32_e32 v98, 0x1000, v121
	v_lshl_or_b32 v102, v48, 12, v121
	v_lshl_or_b32 v114, v26, 12, v72
	s_wait_alu 0xfffd
	v_cndmask_b32_e64 v72, 0, 1, vcc_lo
	v_lshrrev_b32_e32 v121, v77, v100
	v_or_b32_e32 v126, 0x1000, v69
	v_cmp_ne_u32_e32 vcc_lo, v113, v99
	v_lshl_or_b32 v99, v62, 12, v69
	s_wait_alu 0xf1ff
	v_cndmask_b32_e64 v69, 0, 1, s5
	v_cmp_ne_u32_e64 s5, 0, v71
	v_med3_i32 v79, v79, 0, 13
	v_and_or_b32 v73, 0xffe, v95, v73
	v_or_b32_e32 v127, 0x1000, v71
	v_lshlrev_b32_e32 v77, v77, v121
	v_lshl_or_b32 v113, v61, 12, v71
	s_wait_alu 0xf1ff
	v_cndmask_b32_e64 v71, 0, 1, s5
	v_cmp_ne_u32_e64 s5, 0, v75
	v_med3_i32 v95, v122, 0, 13
	v_and_or_b32 v76, 0xffe, v97, v76
	v_lshrrev_b32_e32 v122, v79, v74
	v_or_b32_e32 v128, 0x1000, v75
	v_cmp_ne_u32_e64 s0, v77, v100
	v_lshl_or_b32 v77, v60, 12, v75
	s_wait_alu 0xf1ff
	v_cndmask_b32_e64 v75, 0, 1, s5
	v_cmp_ne_u32_e64 s5, 0, v73
	v_or_b32_e32 v129, 0x1000, v73
	v_lshlrev_b32_e32 v79, v79, v122
	v_lshl_or_b32 v100, v59, 12, v73
	v_or_b32_e32 v130, 0x1000, v76
	s_wait_alu 0xf1ff
	v_cndmask_b32_e64 v73, 0, 1, s5
	v_cmp_ne_u32_e64 s5, 0, v76
	v_cmp_ne_u32_e64 s1, v79, v74
	v_lshl_or_b32 v74, v58, 12, v76
	v_med3_i32 v85, v85, 0, 13
	v_med3_i32 v89, v89, 0, 13
	s_wait_alu 0xf1ff
	v_cndmask_b32_e64 v76, 0, 1, s5
	v_cmp_ne_u32_e64 s5, 0, v78
	v_or_b32_e32 v97, 0x1000, v119
	v_or_b32_e32 v131, 0x1000, v78
	v_lshl_or_b32 v79, v57, 12, v78
	v_med3_i32 v87, v118, 0, 13
	s_wait_alu 0xf1ff
	v_cndmask_b32_e64 v78, 0, 1, s5
	v_cmp_ne_u32_e64 s5, 0, v80
	v_lshrrev_b32_e32 v118, v85, v97
	v_or_b32_e32 v132, 0x1000, v80
	v_lshrrev_b32_e32 v135, v89, v108
	v_lshl_or_b32 v81, v56, 12, v80
	s_wait_alu 0xf1ff
	v_cndmask_b32_e64 v80, 0, 1, s5
	v_cmp_ne_u32_e64 s5, 0, v82
	v_or_b32_e32 v133, 0x1000, v82
	v_lshl_or_b32 v115, v55, 12, v82
	v_lshlrev_b32_e32 v89, v89, v135
	v_lshrrev_b32_e32 v117, v88, v126
	s_wait_alu 0xf1ff
	v_cndmask_b32_e64 v82, 0, 1, s5
	v_cmp_ne_u32_e64 s5, 0, v86
	v_lshlrev_b32_e32 v85, v85, v118
	v_or_b32_e32 v134, 0x1000, v86
	v_lshlrev_b32_e32 v88, v88, v117
	v_med3_i32 v93, v93, 0, 13
	s_wait_alu 0xf1ff
	v_cndmask_b32_e64 v86, 0, 1, s5
	v_cmp_ne_u32_e64 s5, v89, v108
	v_lshrrev_b32_e32 v108, v90, v127
	v_cmp_ne_u32_e64 s8, v85, v97
	v_lshrrev_b32_e32 v89, v92, v128
	v_cmp_ne_u32_e64 s6, v88, v126
	v_lshrrev_b32_e32 v88, v84, v129
	v_lshlrev_b32_e32 v90, v90, v108
	v_cndmask_b32_e64 v85, 0, 1, s8
	v_lshl_or_b32 v83, v46, 12, v119
	v_lshrrev_b32_e32 v119, v93, v98
	v_lshlrev_b32_e32 v92, v92, v89
	v_lshrrev_b32_e32 v126, v94, v130
	v_or_b32_e32 v85, v118, v85
	s_wait_alu 0xfffd
	v_cndmask_b32_e64 v118, 0, 1, vcc_lo
	v_lshlrev_b32_e32 v84, v84, v88
	v_cmp_ne_u32_e32 vcc_lo, v90, v127
	v_lshlrev_b32_e32 v93, v93, v119
	v_cmp_ne_u32_e64 s7, v92, v128
	v_lshrrev_b32_e32 v92, v87, v131
	v_lshlrev_b32_e32 v94, v94, v126
	s_wait_alu 0xfffd
	v_cndmask_b32_e64 v90, 0, 1, vcc_lo
	v_cmp_ne_u32_e32 vcc_lo, v84, v129
	v_lshrrev_b32_e32 v128, v91, v132
	s_wait_alu 0xf1ff
	v_cndmask_b32_e64 v97, 0, 1, s5
	v_cmp_ne_u32_e64 s5, v93, v98
	v_lshl_or_b32 v82, v82, 9, 0x7c00
	v_lshlrev_b32_e32 v87, v87, v92
	s_wait_alu 0xfffd
	v_cndmask_b32_e64 v84, 0, 1, vcc_lo
	v_cmp_ne_u32_e32 vcc_lo, v94, v130
	v_lshl_or_b32 v101, v18, 12, v44
	v_lshrrev_b32_e32 v93, v95, v133
	s_wait_alu 0xf1ff
	v_cndmask_b32_e64 v98, 0, 1, s5
	v_lshlrev_b32_e32 v91, v91, v128
	s_wait_alu 0xfffd
	v_cndmask_b32_e64 v94, 0, 1, vcc_lo
	v_cmp_ne_u32_e32 vcc_lo, v87, v131
	v_med3_i32 v66, v66, 0, 13
	v_or_b32_e32 v105, 0x1000, v44
	v_lshl_or_b32 v68, v68, 9, 0x7c00
	v_or_b32_e32 v98, v119, v98
	v_lshrrev_b32_e32 v119, v96, v134
	v_lshlrev_b32_e32 v95, v95, v93
	s_wait_alu 0xfffd
	v_cndmask_b32_e64 v87, 0, 1, vcc_lo
	v_cmp_ne_u32_e32 vcc_lo, v91, v132
	v_or_b32_e32 v118, v120, v118
	v_lshrrev_b32_e32 v120, v66, v105
	v_lshlrev_b32_e32 v96, v96, v119
	v_or_b32_e32 v97, v135, v97
	s_wait_alu 0xfffd
	v_cndmask_b32_e64 v91, 0, 1, vcc_lo
	v_cmp_ne_u32_e32 vcc_lo, v95, v133
	v_lshlrev_b32_e32 v66, v66, v120
	v_cndmask_b32_e64 v135, 0, 1, s0
	v_or_b32_e32 v84, v88, v84
	v_or_b32_e32 v87, v92, v87
	s_wait_alu 0xfffd
	v_cndmask_b32_e64 v95, 0, 1, vcc_lo
	v_cmp_ne_u32_e32 vcc_lo, v96, v134
	v_or_b32_e32 v121, v121, v135
	v_cndmask_b32_e64 v135, 0, 1, s1
	v_cndmask_b32_e64 v127, 0, 1, s7
	v_or_b32_e32 v93, v93, v95
	s_wait_alu 0xfffd
	v_cndmask_b32_e64 v96, 0, 1, vcc_lo
	v_cmp_ne_u32_e32 vcc_lo, v66, v105
	v_or_b32_e32 v122, v122, v135
	v_cndmask_b32_e64 v135, 0, 1, s2
	v_or_b32_e32 v89, v89, v127
	v_or_b32_e32 v94, v126, v94
	s_wait_alu 0xfffd
	v_cndmask_b32_e64 v66, 0, 1, vcc_lo
	v_cmp_gt_i32_e32 vcc_lo, 1, v46
	v_or_b32_e32 v123, v123, v135
	v_cndmask_b32_e64 v135, 0, 1, s3
	v_or_b32_e32 v91, v128, v91
	v_or_b32_e32 v96, v119, v96
	s_wait_alu 0xfffd
	v_cndmask_b32_e32 v83, v83, v85, vcc_lo
	v_cmp_gt_i32_e32 vcc_lo, 1, v47
	v_or_b32_e32 v85, v108, v90
	v_or_b32_e32 v124, v124, v135
	v_cndmask_b32_e64 v135, 0, 1, s4
	v_lshl_or_b32 v63, v63, 9, 0x7c00
	s_wait_alu 0xfffd
	v_cndmask_b32_e32 v90, v107, v97, vcc_lo
	v_cmp_gt_i32_e32 vcc_lo, 1, v48
	v_lshl_or_b32 v65, v65, 9, 0x7c00
	v_or_b32_e32 v125, v125, v135
	v_cndmask_b32_e64 v135, 0, 1, s6
	v_lshl_or_b32 v67, v67, 9, 0x7c00
	s_wait_alu 0xfffd
	v_cndmask_b32_e32 v97, v102, v98, vcc_lo
	v_cmp_gt_i32_e32 vcc_lo, 1, v49
	v_lshl_or_b32 v69, v69, 9, 0x7c00
	v_or_b32_e32 v105, v117, v135
	v_lshl_or_b32 v71, v71, 9, 0x7c00
	v_lshl_or_b32 v75, v75, 9, 0x7c00
	s_wait_alu 0xfffd
	v_cndmask_b32_e32 v88, v104, v118, vcc_lo
	v_cmp_gt_i32_e32 vcc_lo, 1, v50
	v_lshl_or_b32 v73, v73, 9, 0x7c00
	v_lshl_or_b32 v76, v76, 9, 0x7c00
	v_lshl_or_b32 v78, v78, 9, 0x7c00
	v_lshl_or_b32 v80, v80, 9, 0x7c00
	s_wait_alu 0xfffd
	v_cndmask_b32_e32 v98, v109, v121, vcc_lo
	v_cmp_gt_i32_e32 vcc_lo, 1, v51
	v_lshl_or_b32 v86, v86, 9, 0x7c00
	v_or_b32_e32 v66, v120, v66
	v_lshl_or_b32 v72, v72, 9, 0x7c00
	s_wait_alu 0xfffd
	v_cndmask_b32_e32 v92, v110, v122, vcc_lo
	v_cmp_gt_i32_e32 vcc_lo, 1, v52
	s_wait_alu 0xfffd
	v_cndmask_b32_e32 v102, v111, v123, vcc_lo
	v_cmp_gt_i32_e32 vcc_lo, 1, v53
	;; [unrolled: 3-line block ×3, first 2 shown]
	s_wait_alu 0xfffd
	s_delay_alu instid0(VALU_DEP_2) | instskip(SKIP_2) | instid1(VALU_DEP_3)
	v_dual_cndmask_b32 v104, v114, v125 :: v_dual_and_b32 v107, 7, v95
	v_cmp_gt_i32_e32 vcc_lo, 1, v62
	v_lshrrev_b32_e32 v95, 2, v95
	v_cmp_lt_i32_e64 s13, 5, v107
	s_wait_alu 0xfffd
	v_dual_cndmask_b32 v99, v99, v105 :: v_dual_and_b32 v108, 7, v104
	v_cmp_gt_i32_e32 vcc_lo, 1, v61
	v_and_b32_e32 v105, 7, v102
	v_lshrrev_b32_e32 v102, 2, v102
	v_cmp_eq_u32_e64 s14, 3, v107
	v_cmp_lt_i32_e64 s15, 5, v108
	s_wait_alu 0xfffd
	v_cndmask_b32_e32 v85, v113, v85, vcc_lo
	v_cmp_gt_i32_e32 vcc_lo, 1, v60
	v_cmp_lt_i32_e64 s11, 5, v105
	v_cmp_eq_u32_e64 s12, 3, v105
	v_cmp_eq_u32_e64 s16, 3, v108
	v_lshrrev_b32_e32 v104, 2, v104
	s_wait_alu 0xfffd
	v_cndmask_b32_e32 v77, v77, v89, vcc_lo
	v_cmp_gt_i32_e32 vcc_lo, 1, v59
	v_and_b32_e32 v89, 7, v90
	v_lshrrev_b32_e32 v90, 2, v90
	s_wait_alu 0xfffd
	v_cndmask_b32_e32 v84, v100, v84, vcc_lo
	v_cmp_gt_i32_e32 vcc_lo, 1, v58
	v_and_b32_e32 v100, 7, v98
	v_cmp_lt_i32_e64 s1, 5, v89
	v_cmp_eq_u32_e64 s2, 3, v89
	v_lshrrev_b32_e32 v98, 2, v98
	s_wait_alu 0xfffd
	v_cndmask_b32_e32 v74, v74, v94, vcc_lo
	v_cmp_gt_i32_e32 vcc_lo, 1, v57
	v_cmp_lt_i32_e64 s7, 5, v100
	v_cmp_eq_u32_e64 s8, 3, v100
	s_or_b32 s1, s2, s1
	v_and_b32_e32 v89, 7, v85
	s_wait_alu 0xfffd
	v_cndmask_b32_e32 v79, v79, v87, vcc_lo
	v_cmp_gt_i32_e32 vcc_lo, 1, v56
	v_and_b32_e32 v87, 7, v83
	v_lshrrev_b32_e32 v83, 2, v83
	v_cmp_lt_i32_e64 s19, 5, v89
	v_cmp_eq_u32_e64 s20, 3, v89
	s_wait_alu 0xfffd
	v_cndmask_b32_e32 v81, v81, v91, vcc_lo
	v_cmp_gt_i32_e32 vcc_lo, 1, v55
	v_cmp_eq_u32_e64 s0, 3, v87
	v_lshrrev_b32_e32 v85, 2, v85
	v_and_b32_e32 v100, 7, v74
	v_and_b32_e32 v105, 7, v81
	s_wait_alu 0xfffd
	v_cndmask_b32_e32 v91, v115, v93, vcc_lo
	v_cmp_gt_i32_e32 vcc_lo, 1, v54
	v_and_b32_e32 v93, 7, v97
	v_lshrrev_b32_e32 v97, 2, v97
	v_cmp_lt_i32_e64 s25, 5, v100
	v_cmp_eq_u32_e64 s26, 3, v100
	s_wait_alu 0xfffd
	v_cndmask_b32_e32 v94, v103, v96, vcc_lo
	v_and_b32_e32 v96, 7, v88
	v_cmp_lt_i32_e32 vcc_lo, 5, v87
	v_and_b32_e32 v103, 7, v92
	v_lshrrev_b32_e32 v88, 2, v88
	v_lshrrev_b32_e32 v92, 2, v92
	v_cmp_lt_i32_e64 s5, 5, v96
	v_cmp_eq_u32_e64 s6, 3, v96
	s_or_b32 vcc_lo, s0, vcc_lo
	v_cmp_lt_i32_e64 s9, 5, v103
	v_cmp_eq_u32_e64 s10, 3, v103
	s_wait_alu 0xfffe
	v_add_co_ci_u32_e32 v83, vcc_lo, 0, v83, vcc_lo
	v_and_b32_e32 v87, 7, v99
	s_or_b32 vcc_lo, s6, s5
	v_cmp_lt_i32_e64 s3, 5, v93
	s_wait_alu 0xfffe
	v_add_co_ci_u32_e32 v88, vcc_lo, 0, v88, vcc_lo
	s_or_b32 vcc_lo, s10, s9
	v_cmp_lt_i32_e64 s17, 5, v87
	v_cmp_eq_u32_e64 s18, 3, v87
	v_add_co_ci_u32_e64 v87, s1, 0, v90, s1
	s_wait_alu 0xfffe
	v_add_co_ci_u32_e32 v90, vcc_lo, 0, v92, vcc_lo
	v_cmp_eq_u32_e64 s4, 3, v93
	v_and_b32_e32 v93, 7, v77
	s_or_b32 vcc_lo, s8, s7
	v_and_b32_e32 v96, 7, v84
	s_wait_alu 0xfffe
	v_add_co_ci_u32_e32 v92, vcc_lo, 0, v98, vcc_lo
	s_or_b32 vcc_lo, s12, s11
	v_cmp_lt_i32_e64 s21, 5, v93
	v_cmp_eq_u32_e64 s22, 3, v93
	s_wait_alu 0xfffe
	v_add_co_ci_u32_e32 v93, vcc_lo, 0, v102, vcc_lo
	s_or_b32 vcc_lo, s14, s13
	v_cmp_lt_i32_e64 s23, 5, v96
	s_wait_alu 0xfffe
	v_add_co_ci_u32_e32 v95, vcc_lo, 0, v95, vcc_lo
	s_or_b32 vcc_lo, s16, s15
	v_cmp_eq_u32_e64 s24, 3, v96
	s_wait_alu 0xfffe
	v_add_co_ci_u32_e32 v96, vcc_lo, 0, v104, vcc_lo
	v_cmp_gt_i32_e32 vcc_lo, 31, v47
	s_or_b32 s1, s4, s3
	v_lshrrev_b32_e32 v99, 2, v99
	s_wait_alu 0xfffe
	v_add_co_ci_u32_e64 v89, s1, 0, v97, s1
	s_wait_alu 0xfffd
	v_cndmask_b32_e32 v87, 0x7c00, v87, vcc_lo
	v_cmp_gt_i32_e32 vcc_lo, 31, v48
	v_lshrrev_b32_e32 v77, 2, v77
	v_and_b32_e32 v103, 7, v79
	v_lshrrev_b32_e32 v84, 2, v84
	v_lshrrev_b32_e32 v74, 2, v74
	s_wait_alu 0xfffd
	v_cndmask_b32_e32 v89, 0x7c00, v89, vcc_lo
	v_cmp_gt_i32_e32 vcc_lo, 31, v46
	v_cmp_lt_i32_e64 s27, 5, v103
	v_cmp_eq_u32_e64 s28, 3, v103
	v_and_b32_e32 v107, 7, v91
	v_lshrrev_b32_e32 v79, 2, v79
	s_wait_alu 0xfffd
	v_cndmask_b32_e32 v83, 0x7c00, v83, vcc_lo
	v_cmp_gt_i32_e32 vcc_lo, 31, v49
	v_cmp_lt_i32_e64 s29, 5, v105
	v_cmp_eq_u32_e64 s30, 3, v105
	v_and_b32_e32 v108, 7, v94
	v_lshrrev_b32_e32 v81, 2, v81
	s_wait_alu 0xfffd
	v_cndmask_b32_e32 v88, 0x7c00, v88, vcc_lo
	v_cmp_gt_i32_e32 vcc_lo, 31, v51
	v_cmp_lt_i32_e64 s31, 5, v107
	v_cmp_eq_u32_e64 s33, 3, v107
	v_lshrrev_b32_e32 v91, 2, v91
	v_cmp_lt_i32_e64 s34, 5, v108
	s_wait_alu 0xfffd
	v_cndmask_b32_e32 v90, 0x7c00, v90, vcc_lo
	v_cmp_gt_i32_e32 vcc_lo, 31, v50
	v_cmp_eq_u32_e64 s35, 3, v108
	v_lshrrev_b32_e32 v94, 2, v94
	s_wait_alu 0xfffd
	v_cndmask_b32_e32 v92, 0x7c00, v92, vcc_lo
	v_cmp_gt_i32_e32 vcc_lo, 31, v52
	s_wait_alu 0xfffd
	v_cndmask_b32_e32 v93, 0x7c00, v93, vcc_lo
	v_cmp_gt_i32_e32 vcc_lo, 31, v53
	s_wait_alu 0xfffd
	v_cndmask_b32_e32 v95, 0x7c00, v95, vcc_lo
	s_or_b32 vcc_lo, s18, s17
	s_wait_alu 0xfffe
	v_add_co_ci_u32_e32 v97, vcc_lo, 0, v99, vcc_lo
	s_or_b32 vcc_lo, s20, s19
	s_wait_alu 0xfffe
	v_add_co_ci_u32_e32 v85, vcc_lo, 0, v85, vcc_lo
	;; [unrolled: 3-line block ×9, first 2 shown]
	v_cmp_gt_i32_e32 vcc_lo, 31, v26
	s_wait_alu 0xfffd
	v_cndmask_b32_e32 v96, 0x7c00, v96, vcc_lo
	v_cmp_eq_u32_e32 vcc_lo, 0x40f, v46
	s_wait_alu 0xfffd
	v_cndmask_b32_e32 v46, v83, v116, vcc_lo
	v_cmp_eq_u32_e32 vcc_lo, 0x40f, v47
	s_delay_alu instid0(VALU_DEP_2) | instskip(SKIP_3) | instid1(VALU_DEP_2)
	v_and_or_b32 v27, 0x8000, v27, v46
	s_wait_alu 0xfffd
	v_cndmask_b32_e32 v47, v87, v63, vcc_lo
	v_cmp_eq_u32_e32 vcc_lo, 0x40f, v48
	v_and_or_b32 v28, 0x8000, v28, v47
	s_wait_alu 0xfffd
	v_cndmask_b32_e32 v48, v89, v106, vcc_lo
	v_cmp_eq_u32_e32 vcc_lo, 0x40f, v49
	s_delay_alu instid0(VALU_DEP_2) | instskip(SKIP_3) | instid1(VALU_DEP_2)
	v_and_or_b32 v29, 0x8000, v29, v48
	s_wait_alu 0xfffd
	v_cndmask_b32_e32 v49, v88, v65, vcc_lo
	v_cmp_eq_u32_e32 vcc_lo, 0x40f, v50
	v_and_or_b32 v30, 0x8000, v30, v49
	;; [unrolled: 9-line block ×3, first 2 shown]
	s_wait_alu 0xfffd
	v_cndmask_b32_e32 v52, v93, v68, vcc_lo
	v_cmp_eq_u32_e32 vcc_lo, 0x40f, v53
	s_delay_alu instid0(VALU_DEP_2) | instskip(SKIP_3) | instid1(VALU_DEP_2)
	v_and_or_b32 v33, 0x8000, v33, v52
	s_wait_alu 0xfffd
	v_cndmask_b32_e32 v53, v95, v70, vcc_lo
	v_cmp_gt_i32_e32 vcc_lo, 31, v62
	v_and_or_b32 v34, 0x8000, v34, v53
	s_wait_alu 0xfffd
	v_cndmask_b32_e32 v63, 0x7c00, v97, vcc_lo
	v_cmp_gt_i32_e32 vcc_lo, 31, v61
	s_wait_alu 0xfffd
	v_cndmask_b32_e32 v64, 0x7c00, v85, vcc_lo
	v_cmp_gt_i32_e32 vcc_lo, 31, v60
	;; [unrolled: 3-line block ×8, first 2 shown]
	s_wait_alu 0xfffd
	v_cndmask_b32_e32 v79, 0x7c00, v94, vcc_lo
	v_cmp_eq_u32_e32 vcc_lo, 0x40f, v62
	s_wait_alu 0xfffd
	v_cndmask_b32_e32 v62, v63, v69, vcc_lo
	v_cmp_eq_u32_e32 vcc_lo, 0x40f, v61
	s_delay_alu instid0(VALU_DEP_2) | instskip(SKIP_3) | instid1(VALU_DEP_3)
	v_and_or_b32 v35, 0x8000, v35, v62
	s_wait_alu 0xfffd
	v_cndmask_b32_e32 v46, v64, v71, vcc_lo
	v_cmp_eq_u32_e32 vcc_lo, 0x40f, v60
	v_and_b32_e32 v35, 0xffff, v35
	s_delay_alu instid0(VALU_DEP_3)
	v_and_or_b32 v36, 0x8000, v36, v46
	s_wait_alu 0xfffd
	v_cndmask_b32_e32 v47, v65, v75, vcc_lo
	v_cmp_eq_u32_e32 vcc_lo, 0x40f, v59
	v_lshl_or_b32 v27, v27, 16, v35
	v_and_b32_e32 v36, 0xffff, v36
	s_delay_alu instid0(VALU_DEP_4)
	v_and_or_b32 v37, 0x8000, v37, v47
	s_wait_alu 0xfffd
	v_cndmask_b32_e32 v48, v67, v73, vcc_lo
	v_cmp_eq_u32_e32 vcc_lo, 0x40f, v58
	v_lshl_or_b32 v28, v28, 16, v36
	v_and_b32_e32 v37, 0xffff, v37
	s_delay_alu instid0(VALU_DEP_4)
	;; [unrolled: 7-line block ×5, first 2 shown]
	v_and_or_b32 v43, 0x8000, v43, v51
	s_wait_alu 0xfffd
	v_cndmask_b32_e32 v52, v77, v82, vcc_lo
	v_cmp_eq_u32_e32 vcc_lo, 0x40f, v54
	v_lshl_or_b32 v32, v32, 16, v40
	s_clause 0x4
	global_store_b32 v[0:1], v27, off
	global_store_b32 v[2:3], v28, off
	;; [unrolled: 1-line block ×6, first 2 shown]
	v_cvt_f32_f16_e32 v0, v4
	s_wait_alu 0xfffd
	v_cndmask_b32_e32 v53, v79, v86, vcc_lo
	v_cmp_gt_i32_e32 vcc_lo, 1, v18
	v_lshrrev_b32_e32 v4, 8, v19
	v_lshrrev_b32_e32 v10, 16, v5
	v_cvt_f64_f32_e32 v[0:1], v0
	v_bfe_u32 v9, v19, 20, 11
	s_wait_alu 0xfffd
	v_cndmask_b32_e32 v2, v101, v66, vcc_lo
	v_cmp_ne_u32_e32 vcc_lo, 0, v24
	v_and_or_b32 v8, 0x8000, v22, v53
	v_lshrrev_b32_e32 v20, 16, v25
	v_and_b32_e32 v43, 0xffff, v43
	v_and_b32_e32 v12, 7, v2
	s_wait_alu 0xfffd
	v_cndmask_b32_e64 v3, 0, 1, vcc_lo
	v_cmp_eq_u32_e32 vcc_lo, 0x40f, v26
	v_lshrrev_b32_e32 v2, 2, v2
	v_lshl_or_b32 v33, v33, 16, v43
	v_cmp_eq_u32_e64 s0, 3, v12
	v_and_or_b32 v13, 0xffe, v4, v3
	v_mul_f16_e32 v4, v42, v10
	v_sub_nc_u32_e32 v3, 0x3f1, v9
	s_wait_alu 0xfffd
	v_cndmask_b32_e32 v11, v96, v72, vcc_lo
	v_cmp_lt_i32_e32 vcc_lo, 5, v12
	v_or_b32_e32 v21, 0x1000, v13
	v_fmac_f16_e32 v4, v41, v5
	v_med3_i32 v22, v3, 0, 13
	v_and_or_b32 v11, 0x8000, v20, v11
	s_or_b32 vcc_lo, s0, vcc_lo
	v_mul_f16_e32 v5, v42, v5
	v_cvt_f32_f16_e32 v3, v4
	v_lshrrev_b32_e32 v12, v22, v21
	v_and_or_b32 v4, 0x1ff, v17, v16
	s_wait_alu 0xfffe
	v_add_co_ci_u32_e32 v16, vcc_lo, 0, v2, vcc_lo
	v_cvt_f64_f32_e32 v[2:3], v3
	v_lshlrev_b32_e32 v20, v22, v12
	v_cmp_ne_u32_e32 vcc_lo, 0, v4
	v_fma_f16 v5, v41, v10, -v5
	v_lshrrev_b32_e32 v22, 8, v17
	v_bfe_u32 v10, v17, 20, 11
	global_store_b32 v[14:15], v33, off
	s_wait_alu 0xfffd
	v_cndmask_b32_e64 v4, 0, 1, vcc_lo
	v_cmp_ne_u32_e32 vcc_lo, v20, v21
	v_add_nc_u32_e32 v21, 0xfffffc10, v9
	v_cvt_f32_f16_e32 v5, v5
	v_mul_f64_e32 v[0:1], s[38:39], v[0:1]
	v_and_or_b32 v22, 0xffe, v22, v4
	s_wait_alu 0xfffd
	v_cndmask_b32_e64 v20, 0, 1, vcc_lo
	v_cmp_ne_u32_e32 vcc_lo, 0, v44
	v_lshl_or_b32 v24, v21, 12, v13
	v_cvt_f64_f32_e32 v[4:5], v5
	v_sub_nc_u32_e32 v9, 0x3f1, v10
	v_or_b32_e32 v12, v12, v20
	s_wait_alu 0xfffd
	v_cndmask_b32_e64 v25, 0, 1, vcc_lo
	v_cmp_gt_i32_e32 vcc_lo, 1, v21
	v_or_b32_e32 v20, 0x1000, v22
	v_med3_i32 v9, v9, 0, 13
	v_and_b32_e32 v8, 0xffff, v8
	v_add_nc_u32_e32 v10, 0xfffffc10, v10
	s_wait_alu 0xfffd
	v_cndmask_b32_e32 v12, v24, v12, vcc_lo
	v_cmp_gt_i32_e32 vcc_lo, 31, v18
	v_lshl_or_b32 v24, v25, 9, 0x7c00
	v_lshrrev_b32_e32 v26, v9, v20
	v_lshl_or_b32 v11, v11, 16, v8
	v_and_b32_e32 v14, 7, v12
	s_wait_alu 0xfffd
	v_cndmask_b32_e32 v16, 0x7c00, v16, vcc_lo
	v_cmp_eq_u32_e32 vcc_lo, 0x40f, v18
	v_lshrrev_b32_e32 v8, 2, v12
	v_lshlrev_b32_e32 v9, v9, v26
	v_cmp_eq_u32_e64 s0, 3, v14
	v_lshrrev_b32_e32 v17, 16, v17
	s_wait_alu 0xfffd
	v_cndmask_b32_e32 v15, v16, v24, vcc_lo
	v_cmp_lt_i32_e32 vcc_lo, 5, v14
	v_mul_f64_e32 v[2:3], s[38:39], v[2:3]
	v_cmp_ne_u32_e64 s1, v9, v20
	v_lshl_or_b32 v14, v10, 12, v22
	v_lshrrev_b32_e32 v16, 16, v23
	s_or_b32 vcc_lo, s0, vcc_lo
	v_and_or_b32 v45, 0x8000, v45, v52
	s_wait_alu 0xfffe
	v_add_co_ci_u32_e32 v8, vcc_lo, 0, v8, vcc_lo
	v_cmp_ne_u32_e32 vcc_lo, 0, v13
	v_cndmask_b32_e64 v9, 0, 1, s1
	v_and_or_b32 v0, 0x1ff, v1, v0
	v_bfe_u32 v20, v1, 20, 11
	v_and_or_b32 v15, 0x8000, v16, v15
	s_wait_alu 0xfffd
	v_cndmask_b32_e64 v12, 0, 1, vcc_lo
	v_cmp_gt_i32_e32 vcc_lo, 31, v21
	v_or_b32_e32 v13, v26, v9
	v_mul_f64_e32 v[4:5], s[38:39], v[4:5]
	v_and_b32_e32 v45, 0xffff, v45
	v_lshl_or_b32 v12, v12, 9, 0x7c00
	s_wait_alu 0xfffd
	v_cndmask_b32_e32 v18, 0x7c00, v8, vcc_lo
	v_add_co_u32 v8, vcc_lo, v6, s36
	s_wait_alu 0xfffd
	v_add_co_ci_u32_e32 v9, vcc_lo, s37, v7, vcc_lo
	v_cmp_gt_i32_e32 vcc_lo, 1, v10
	v_and_b32_e32 v15, 0xffff, v15
	v_lshl_or_b32 v34, v34, 16, v45
	s_wait_alu 0xfffd
	v_cndmask_b32_e32 v13, v14, v13, vcc_lo
	v_cmp_ne_u32_e32 vcc_lo, 0, v0
	v_lshrrev_b32_e32 v14, 8, v1
	v_lshrrev_b32_e32 v1, 16, v1
	s_wait_alu 0xfffd
	v_cndmask_b32_e64 v0, 0, 1, vcc_lo
	v_cmp_eq_u32_e32 vcc_lo, 0x40f, v21
	v_and_or_b32 v2, 0x1ff, v3, v2
	v_bfe_u32 v21, v3, 20, 11
	s_delay_alu instid0(VALU_DEP_4)
	v_and_or_b32 v0, 0xffe, v14, v0
	s_wait_alu 0xfffd
	v_cndmask_b32_e32 v12, v18, v12, vcc_lo
	v_lshrrev_b32_e32 v18, 16, v19
	v_and_b32_e32 v19, 7, v13
	v_sub_nc_u32_e32 v14, 0x3f1, v20
	v_lshrrev_b32_e32 v13, 2, v13
	v_or_b32_e32 v16, 0x1000, v0
	v_and_or_b32 v12, 0x8000, v18, v12
	v_cmp_lt_i32_e32 vcc_lo, 5, v19
	v_cmp_eq_u32_e64 s0, 3, v19
	v_med3_i32 v14, v14, 0, 13
	v_lshrrev_b32_e32 v19, 8, v3
	v_lshrrev_b32_e32 v3, 16, v3
	v_lshl_or_b32 v12, v12, 16, v15
	s_or_b32 vcc_lo, s0, vcc_lo
	v_lshrrev_b32_e32 v18, v14, v16
	s_wait_alu 0xfffe
	v_add_co_ci_u32_e32 v13, vcc_lo, 0, v13, vcc_lo
	v_cmp_ne_u32_e32 vcc_lo, 0, v2
	v_and_or_b32 v4, 0x1ff, v5, v4
	v_lshlrev_b32_e32 v14, v14, v18
	v_lshrrev_b32_e32 v23, 8, v5
	v_bfe_u32 v24, v5, 20, 11
	s_wait_alu 0xfffd
	v_cndmask_b32_e64 v2, 0, 1, vcc_lo
	v_cmp_ne_u32_e32 vcc_lo, 0, v22
	s_delay_alu instid0(VALU_DEP_2)
	v_and_or_b32 v2, 0xffe, v19, v2
	s_wait_alu 0xfffd
	v_cndmask_b32_e64 v22, 0, 1, vcc_lo
	v_cmp_ne_u32_e32 vcc_lo, v14, v16
	v_sub_nc_u32_e32 v19, 0x3f1, v21
	v_add_nc_u32_e32 v16, 0xfffffc10, v20
	v_or_b32_e32 v20, 0x1000, v2
	s_wait_alu 0xfffd
	v_cndmask_b32_e64 v14, 0, 1, vcc_lo
	v_cmp_gt_i32_e32 vcc_lo, 31, v10
	v_med3_i32 v19, v19, 0, 13
	s_delay_alu instid0(VALU_DEP_3)
	v_or_b32_e32 v14, v18, v14
	s_wait_alu 0xfffd
	v_cndmask_b32_e32 v13, 0x7c00, v13, vcc_lo
	v_cmp_ne_u32_e32 vcc_lo, 0, v4
	v_lshl_or_b32 v18, v16, 12, v0
	v_lshrrev_b32_e32 v25, v19, v20
	s_wait_alu 0xfffd
	v_cndmask_b32_e64 v4, 0, 1, vcc_lo
	v_cmp_gt_i32_e32 vcc_lo, 1, v16
	s_delay_alu instid0(VALU_DEP_3) | instskip(NEXT) | instid1(VALU_DEP_3)
	v_lshlrev_b32_e32 v19, v19, v25
	v_and_or_b32 v4, 0xffe, v23, v4
	v_sub_nc_u32_e32 v23, 0x3f1, v24
	s_wait_alu 0xfffd
	v_cndmask_b32_e32 v14, v18, v14, vcc_lo
	v_lshl_or_b32 v18, v22, 9, 0x7c00
	v_cmp_eq_u32_e32 vcc_lo, 0x40f, v10
	v_or_b32_e32 v22, 0x1000, v4
	v_med3_i32 v23, v23, 0, 13
	v_and_b32_e32 v26, 7, v14
	v_lshrrev_b32_e32 v14, 2, v14
	s_wait_alu 0xfffd
	v_cndmask_b32_e32 v10, v13, v18, vcc_lo
	v_cmp_ne_u32_e32 vcc_lo, v19, v20
	v_add_nc_u32_e32 v18, 0xfffffc10, v21
	v_lshrrev_b32_e32 v19, v23, v22
	v_cmp_eq_u32_e64 s0, 3, v26
	v_and_or_b32 v10, 0x8000, v17, v10
	s_wait_alu 0xfffd
	v_cndmask_b32_e64 v13, 0, 1, vcc_lo
	v_lshl_or_b32 v20, v18, 12, v2
	v_lshlrev_b32_e32 v21, v23, v19
	v_cmp_gt_i32_e64 s1, 1, v18
	v_cmp_lt_i32_e32 vcc_lo, 5, v26
	v_or_b32_e32 v13, v25, v13
	v_and_b32_e32 v10, 0xffff, v10
	s_or_b32 vcc_lo, s0, vcc_lo
	s_delay_alu instid0(VALU_DEP_2)
	v_cndmask_b32_e64 v13, v20, v13, s1
	v_cmp_ne_u32_e64 s1, v21, v22
	v_add_nc_u32_e32 v21, 0xfffffc10, v24
	s_wait_alu 0xfffe
	v_add_co_ci_u32_e32 v14, vcc_lo, 0, v14, vcc_lo
	v_and_b32_e32 v22, 7, v13
	s_wait_alu 0xf1ff
	v_cndmask_b32_e64 v20, 0, 1, s1
	v_cmp_ne_u32_e32 vcc_lo, 0, v0
	v_cmp_gt_i32_e64 s0, 1, v21
	v_lshrrev_b32_e32 v13, 2, v13
	v_cmp_gt_i32_e64 s1, 31, v16
	v_or_b32_e32 v19, v19, v20
	v_lshl_or_b32 v20, v21, 12, v4
	s_wait_alu 0xfffd
	v_cndmask_b32_e64 v0, 0, 1, vcc_lo
	v_cmp_lt_i32_e32 vcc_lo, 5, v22
	s_wait_alu 0xf1ff
	v_cndmask_b32_e64 v14, 0x7c00, v14, s1
	v_cmp_eq_u32_e64 s1, 0x40f, v16
	v_cndmask_b32_e64 v17, v20, v19, s0
	v_cmp_eq_u32_e64 s0, 3, v22
	v_lshl_or_b32 v0, v0, 9, 0x7c00
	s_delay_alu instid0(VALU_DEP_3) | instskip(NEXT) | instid1(VALU_DEP_3)
	v_and_b32_e32 v19, 7, v17
	s_or_b32 vcc_lo, s0, vcc_lo
	s_delay_alu instid0(VALU_DEP_2)
	v_cndmask_b32_e64 v0, v14, v0, s1
	s_wait_alu 0xfffe
	v_add_co_ci_u32_e32 v13, vcc_lo, 0, v13, vcc_lo
	v_cmp_ne_u32_e32 vcc_lo, 0, v2
	v_cmp_eq_u32_e64 s0, 3, v19
	v_lshrrev_b32_e32 v14, 2, v17
	v_cmp_gt_i32_e64 s1, 31, v18
	s_wait_alu 0xfffd
	v_cndmask_b32_e64 v2, 0, 1, vcc_lo
	v_cmp_lt_i32_e32 vcc_lo, 5, v19
	s_wait_alu 0xf1ff
	v_cndmask_b32_e64 v13, 0x7c00, v13, s1
	s_delay_alu instid0(VALU_DEP_3)
	v_lshl_or_b32 v2, v2, 9, 0x7c00
	s_or_b32 vcc_lo, s0, vcc_lo
	s_wait_alu 0xfffe
	v_add_co_ci_u32_e32 v14, vcc_lo, 0, v14, vcc_lo
	v_cmp_ne_u32_e32 vcc_lo, 0, v4
	s_wait_alu 0xfffd
	v_cndmask_b32_e64 v4, 0, 1, vcc_lo
	v_cmp_eq_u32_e32 vcc_lo, 0x40f, v18
	s_delay_alu instid0(VALU_DEP_2) | instskip(SKIP_3) | instid1(VALU_DEP_2)
	v_lshl_or_b32 v4, v4, 9, 0x7c00
	s_wait_alu 0xfffd
	v_cndmask_b32_e32 v2, v13, v2, vcc_lo
	v_cmp_gt_i32_e32 vcc_lo, 31, v21
	v_and_or_b32 v2, 0x8000, v3, v2
	s_wait_alu 0xfffd
	v_cndmask_b32_e32 v13, 0x7c00, v14, vcc_lo
	v_cmp_eq_u32_e32 vcc_lo, 0x40f, v21
	v_and_or_b32 v14, 0x8000, v1, v0
	s_wait_alu 0xfffd
	s_delay_alu instid0(VALU_DEP_3) | instskip(SKIP_4) | instid1(VALU_DEP_3)
	v_cndmask_b32_e32 v3, v13, v4, vcc_lo
	v_lshrrev_b32_e32 v4, 16, v5
	v_add_co_u32 v0, vcc_lo, v8, s36
	s_wait_alu 0xfffd
	v_add_co_ci_u32_e32 v1, vcc_lo, s37, v9, vcc_lo
	v_and_or_b32 v4, 0x8000, v4, v3
	v_and_b32_e32 v5, 0xffff, v2
	v_add_co_u32 v2, vcc_lo, v0, s36
	s_wait_alu 0xfffd
	v_add_co_ci_u32_e32 v3, vcc_lo, s37, v1, vcc_lo
	s_delay_alu instid0(VALU_DEP_3) | instskip(NEXT) | instid1(VALU_DEP_3)
	v_lshl_or_b32 v13, v4, 16, v5
	v_add_co_u32 v4, vcc_lo, v2, s36
	v_lshl_or_b32 v10, v14, 16, v10
	s_wait_alu 0xfffd
	v_add_co_ci_u32_e32 v5, vcc_lo, s37, v3, vcc_lo
	global_store_b32 v[6:7], v34, off
	global_store_b32 v[8:9], v11, off
	;; [unrolled: 1-line block ×5, first 2 shown]
.LBB0_2:
	s_nop 0
	s_sendmsg sendmsg(MSG_DEALLOC_VGPRS)
	s_endpgm
	.section	.rodata,"a",@progbits
	.p2align	6, 0x0
	.amdhsa_kernel bluestein_single_fwd_len1296_dim1_half_op_CI_CI
		.amdhsa_group_segment_fixed_size 5184
		.amdhsa_private_segment_fixed_size 0
		.amdhsa_kernarg_size 104
		.amdhsa_user_sgpr_count 2
		.amdhsa_user_sgpr_dispatch_ptr 0
		.amdhsa_user_sgpr_queue_ptr 0
		.amdhsa_user_sgpr_kernarg_segment_ptr 1
		.amdhsa_user_sgpr_dispatch_id 0
		.amdhsa_user_sgpr_private_segment_size 0
		.amdhsa_wavefront_size32 1
		.amdhsa_uses_dynamic_stack 0
		.amdhsa_enable_private_segment 0
		.amdhsa_system_sgpr_workgroup_id_x 1
		.amdhsa_system_sgpr_workgroup_id_y 0
		.amdhsa_system_sgpr_workgroup_id_z 0
		.amdhsa_system_sgpr_workgroup_info 0
		.amdhsa_system_vgpr_workitem_id 0
		.amdhsa_next_free_vgpr 140
		.amdhsa_next_free_sgpr 40
		.amdhsa_reserve_vcc 1
		.amdhsa_float_round_mode_32 0
		.amdhsa_float_round_mode_16_64 0
		.amdhsa_float_denorm_mode_32 3
		.amdhsa_float_denorm_mode_16_64 3
		.amdhsa_fp16_overflow 0
		.amdhsa_workgroup_processor_mode 1
		.amdhsa_memory_ordered 1
		.amdhsa_forward_progress 0
		.amdhsa_round_robin_scheduling 0
		.amdhsa_exception_fp_ieee_invalid_op 0
		.amdhsa_exception_fp_denorm_src 0
		.amdhsa_exception_fp_ieee_div_zero 0
		.amdhsa_exception_fp_ieee_overflow 0
		.amdhsa_exception_fp_ieee_underflow 0
		.amdhsa_exception_fp_ieee_inexact 0
		.amdhsa_exception_int_div_zero 0
	.end_amdhsa_kernel
	.text
.Lfunc_end0:
	.size	bluestein_single_fwd_len1296_dim1_half_op_CI_CI, .Lfunc_end0-bluestein_single_fwd_len1296_dim1_half_op_CI_CI
                                        ; -- End function
	.section	.AMDGPU.csdata,"",@progbits
; Kernel info:
; codeLenInByte = 18148
; NumSgprs: 42
; NumVgprs: 140
; ScratchSize: 0
; MemoryBound: 0
; FloatMode: 240
; IeeeMode: 1
; LDSByteSize: 5184 bytes/workgroup (compile time only)
; SGPRBlocks: 5
; VGPRBlocks: 17
; NumSGPRsForWavesPerEU: 42
; NumVGPRsForWavesPerEU: 140
; Occupancy: 10
; WaveLimiterHint : 1
; COMPUTE_PGM_RSRC2:SCRATCH_EN: 0
; COMPUTE_PGM_RSRC2:USER_SGPR: 2
; COMPUTE_PGM_RSRC2:TRAP_HANDLER: 0
; COMPUTE_PGM_RSRC2:TGID_X_EN: 1
; COMPUTE_PGM_RSRC2:TGID_Y_EN: 0
; COMPUTE_PGM_RSRC2:TGID_Z_EN: 0
; COMPUTE_PGM_RSRC2:TIDIG_COMP_CNT: 0
	.text
	.p2alignl 7, 3214868480
	.fill 96, 4, 3214868480
	.type	__hip_cuid_8065904153a52a4f,@object ; @__hip_cuid_8065904153a52a4f
	.section	.bss,"aw",@nobits
	.globl	__hip_cuid_8065904153a52a4f
__hip_cuid_8065904153a52a4f:
	.byte	0                               ; 0x0
	.size	__hip_cuid_8065904153a52a4f, 1

	.ident	"AMD clang version 19.0.0git (https://github.com/RadeonOpenCompute/llvm-project roc-6.4.0 25133 c7fe45cf4b819c5991fe208aaa96edf142730f1d)"
	.section	".note.GNU-stack","",@progbits
	.addrsig
	.addrsig_sym __hip_cuid_8065904153a52a4f
	.amdgpu_metadata
---
amdhsa.kernels:
  - .args:
      - .actual_access:  read_only
        .address_space:  global
        .offset:         0
        .size:           8
        .value_kind:     global_buffer
      - .actual_access:  read_only
        .address_space:  global
        .offset:         8
        .size:           8
        .value_kind:     global_buffer
      - .actual_access:  read_only
        .address_space:  global
        .offset:         16
        .size:           8
        .value_kind:     global_buffer
      - .actual_access:  read_only
        .address_space:  global
        .offset:         24
        .size:           8
        .value_kind:     global_buffer
      - .actual_access:  read_only
        .address_space:  global
        .offset:         32
        .size:           8
        .value_kind:     global_buffer
      - .offset:         40
        .size:           8
        .value_kind:     by_value
      - .address_space:  global
        .offset:         48
        .size:           8
        .value_kind:     global_buffer
      - .address_space:  global
        .offset:         56
        .size:           8
        .value_kind:     global_buffer
      - .address_space:  global
        .offset:         64
        .size:           8
        .value_kind:     global_buffer
      - .address_space:  global
        .offset:         72
        .size:           8
        .value_kind:     global_buffer
      - .offset:         80
        .size:           4
        .value_kind:     by_value
      - .address_space:  global
        .offset:         88
        .size:           8
        .value_kind:     global_buffer
      - .address_space:  global
        .offset:         96
        .size:           8
        .value_kind:     global_buffer
    .group_segment_fixed_size: 5184
    .kernarg_segment_align: 8
    .kernarg_segment_size: 104
    .language:       OpenCL C
    .language_version:
      - 2
      - 0
    .max_flat_workgroup_size: 108
    .name:           bluestein_single_fwd_len1296_dim1_half_op_CI_CI
    .private_segment_fixed_size: 0
    .sgpr_count:     42
    .sgpr_spill_count: 0
    .symbol:         bluestein_single_fwd_len1296_dim1_half_op_CI_CI.kd
    .uniform_work_group_size: 1
    .uses_dynamic_stack: false
    .vgpr_count:     140
    .vgpr_spill_count: 0
    .wavefront_size: 32
    .workgroup_processor_mode: 1
amdhsa.target:   amdgcn-amd-amdhsa--gfx1201
amdhsa.version:
  - 1
  - 2
...

	.end_amdgpu_metadata
